;; amdgpu-corpus repo=ROCm/rocFFT kind=compiled arch=gfx1201 opt=O3
	.text
	.amdgcn_target "amdgcn-amd-amdhsa--gfx1201"
	.amdhsa_code_object_version 6
	.protected	fft_rtc_back_len3000_factors_10_3_10_10_wgs_100_tpt_100_halfLds_half_ip_CI_unitstride_sbrr_R2C_dirReg ; -- Begin function fft_rtc_back_len3000_factors_10_3_10_10_wgs_100_tpt_100_halfLds_half_ip_CI_unitstride_sbrr_R2C_dirReg
	.globl	fft_rtc_back_len3000_factors_10_3_10_10_wgs_100_tpt_100_halfLds_half_ip_CI_unitstride_sbrr_R2C_dirReg
	.p2align	8
	.type	fft_rtc_back_len3000_factors_10_3_10_10_wgs_100_tpt_100_halfLds_half_ip_CI_unitstride_sbrr_R2C_dirReg,@function
fft_rtc_back_len3000_factors_10_3_10_10_wgs_100_tpt_100_halfLds_half_ip_CI_unitstride_sbrr_R2C_dirReg: ; @fft_rtc_back_len3000_factors_10_3_10_10_wgs_100_tpt_100_halfLds_half_ip_CI_unitstride_sbrr_R2C_dirReg
; %bb.0:
	s_clause 0x2
	s_load_b128 s[4:7], s[0:1], 0x0
	s_load_b64 s[8:9], s[0:1], 0x50
	s_load_b64 s[10:11], s[0:1], 0x18
	v_mul_u32_u24_e32 v1, 0x290, v0
	v_mov_b32_e32 v3, 0
	s_delay_alu instid0(VALU_DEP_2) | instskip(NEXT) | instid1(VALU_DEP_1)
	v_lshrrev_b32_e32 v1, 16, v1
	v_add_nc_u32_e32 v5, ttmp9, v1
	v_mov_b32_e32 v1, 0
	v_mov_b32_e32 v2, 0
	;; [unrolled: 1-line block ×3, first 2 shown]
	s_wait_kmcnt 0x0
	v_cmp_lt_u64_e64 s2, s[6:7], 2
	s_delay_alu instid0(VALU_DEP_1)
	s_and_b32 vcc_lo, exec_lo, s2
	s_cbranch_vccnz .LBB0_8
; %bb.1:
	s_load_b64 s[2:3], s[0:1], 0x10
	v_mov_b32_e32 v1, 0
	v_mov_b32_e32 v2, 0
	s_add_nc_u64 s[12:13], s[10:11], 8
	s_mov_b64 s[14:15], 1
	s_wait_kmcnt 0x0
	s_add_nc_u64 s[16:17], s[2:3], 8
	s_mov_b32 s3, 0
.LBB0_2:                                ; =>This Inner Loop Header: Depth=1
	s_load_b64 s[18:19], s[16:17], 0x0
                                        ; implicit-def: $vgpr7_vgpr8
	s_mov_b32 s2, exec_lo
	s_wait_kmcnt 0x0
	v_or_b32_e32 v4, s19, v6
	s_delay_alu instid0(VALU_DEP_1)
	v_cmpx_ne_u64_e32 0, v[3:4]
	s_wait_alu 0xfffe
	s_xor_b32 s20, exec_lo, s2
	s_cbranch_execz .LBB0_4
; %bb.3:                                ;   in Loop: Header=BB0_2 Depth=1
	s_cvt_f32_u32 s2, s18
	s_cvt_f32_u32 s21, s19
	s_sub_nc_u64 s[24:25], 0, s[18:19]
	s_wait_alu 0xfffe
	s_delay_alu instid0(SALU_CYCLE_1) | instskip(SKIP_1) | instid1(SALU_CYCLE_2)
	s_fmamk_f32 s2, s21, 0x4f800000, s2
	s_wait_alu 0xfffe
	v_s_rcp_f32 s2, s2
	s_delay_alu instid0(TRANS32_DEP_1) | instskip(SKIP_1) | instid1(SALU_CYCLE_2)
	s_mul_f32 s2, s2, 0x5f7ffffc
	s_wait_alu 0xfffe
	s_mul_f32 s21, s2, 0x2f800000
	s_wait_alu 0xfffe
	s_delay_alu instid0(SALU_CYCLE_2) | instskip(SKIP_1) | instid1(SALU_CYCLE_2)
	s_trunc_f32 s21, s21
	s_wait_alu 0xfffe
	s_fmamk_f32 s2, s21, 0xcf800000, s2
	s_cvt_u32_f32 s23, s21
	s_wait_alu 0xfffe
	s_delay_alu instid0(SALU_CYCLE_1) | instskip(SKIP_1) | instid1(SALU_CYCLE_2)
	s_cvt_u32_f32 s22, s2
	s_wait_alu 0xfffe
	s_mul_u64 s[26:27], s[24:25], s[22:23]
	s_wait_alu 0xfffe
	s_mul_hi_u32 s29, s22, s27
	s_mul_i32 s28, s22, s27
	s_mul_hi_u32 s2, s22, s26
	s_mul_i32 s30, s23, s26
	s_wait_alu 0xfffe
	s_add_nc_u64 s[28:29], s[2:3], s[28:29]
	s_mul_hi_u32 s21, s23, s26
	s_mul_hi_u32 s31, s23, s27
	s_add_co_u32 s2, s28, s30
	s_wait_alu 0xfffe
	s_add_co_ci_u32 s2, s29, s21
	s_mul_i32 s26, s23, s27
	s_add_co_ci_u32 s27, s31, 0
	s_wait_alu 0xfffe
	s_add_nc_u64 s[26:27], s[2:3], s[26:27]
	s_wait_alu 0xfffe
	v_add_co_u32 v4, s2, s22, s26
	s_delay_alu instid0(VALU_DEP_1) | instskip(SKIP_1) | instid1(VALU_DEP_1)
	s_cmp_lg_u32 s2, 0
	s_add_co_ci_u32 s23, s23, s27
	v_readfirstlane_b32 s22, v4
	s_wait_alu 0xfffe
	s_delay_alu instid0(VALU_DEP_1)
	s_mul_u64 s[24:25], s[24:25], s[22:23]
	s_wait_alu 0xfffe
	s_mul_hi_u32 s27, s22, s25
	s_mul_i32 s26, s22, s25
	s_mul_hi_u32 s2, s22, s24
	s_mul_i32 s28, s23, s24
	s_wait_alu 0xfffe
	s_add_nc_u64 s[26:27], s[2:3], s[26:27]
	s_mul_hi_u32 s21, s23, s24
	s_mul_hi_u32 s22, s23, s25
	s_wait_alu 0xfffe
	s_add_co_u32 s2, s26, s28
	s_add_co_ci_u32 s2, s27, s21
	s_mul_i32 s24, s23, s25
	s_add_co_ci_u32 s25, s22, 0
	s_wait_alu 0xfffe
	s_add_nc_u64 s[24:25], s[2:3], s[24:25]
	s_wait_alu 0xfffe
	v_add_co_u32 v4, s2, v4, s24
	s_delay_alu instid0(VALU_DEP_1) | instskip(SKIP_1) | instid1(VALU_DEP_1)
	s_cmp_lg_u32 s2, 0
	s_add_co_ci_u32 s2, s23, s25
	v_mul_hi_u32 v13, v5, v4
	s_wait_alu 0xfffe
	v_mad_co_u64_u32 v[7:8], null, v5, s2, 0
	v_mad_co_u64_u32 v[9:10], null, v6, v4, 0
	;; [unrolled: 1-line block ×3, first 2 shown]
	s_delay_alu instid0(VALU_DEP_3) | instskip(SKIP_1) | instid1(VALU_DEP_4)
	v_add_co_u32 v4, vcc_lo, v13, v7
	s_wait_alu 0xfffd
	v_add_co_ci_u32_e32 v7, vcc_lo, 0, v8, vcc_lo
	s_delay_alu instid0(VALU_DEP_2) | instskip(SKIP_1) | instid1(VALU_DEP_2)
	v_add_co_u32 v4, vcc_lo, v4, v9
	s_wait_alu 0xfffd
	v_add_co_ci_u32_e32 v4, vcc_lo, v7, v10, vcc_lo
	s_wait_alu 0xfffd
	v_add_co_ci_u32_e32 v7, vcc_lo, 0, v12, vcc_lo
	s_delay_alu instid0(VALU_DEP_2) | instskip(SKIP_1) | instid1(VALU_DEP_2)
	v_add_co_u32 v4, vcc_lo, v4, v11
	s_wait_alu 0xfffd
	v_add_co_ci_u32_e32 v9, vcc_lo, 0, v7, vcc_lo
	s_delay_alu instid0(VALU_DEP_2) | instskip(SKIP_1) | instid1(VALU_DEP_3)
	v_mul_lo_u32 v10, s19, v4
	v_mad_co_u64_u32 v[7:8], null, s18, v4, 0
	v_mul_lo_u32 v11, s18, v9
	s_delay_alu instid0(VALU_DEP_2) | instskip(NEXT) | instid1(VALU_DEP_2)
	v_sub_co_u32 v7, vcc_lo, v5, v7
	v_add3_u32 v8, v8, v11, v10
	s_delay_alu instid0(VALU_DEP_1) | instskip(SKIP_1) | instid1(VALU_DEP_1)
	v_sub_nc_u32_e32 v10, v6, v8
	s_wait_alu 0xfffd
	v_subrev_co_ci_u32_e64 v10, s2, s19, v10, vcc_lo
	v_add_co_u32 v11, s2, v4, 2
	s_wait_alu 0xf1ff
	v_add_co_ci_u32_e64 v12, s2, 0, v9, s2
	v_sub_co_u32 v13, s2, v7, s18
	v_sub_co_ci_u32_e32 v8, vcc_lo, v6, v8, vcc_lo
	s_wait_alu 0xf1ff
	v_subrev_co_ci_u32_e64 v10, s2, 0, v10, s2
	s_delay_alu instid0(VALU_DEP_3) | instskip(NEXT) | instid1(VALU_DEP_3)
	v_cmp_le_u32_e32 vcc_lo, s18, v13
	v_cmp_eq_u32_e64 s2, s19, v8
	s_wait_alu 0xfffd
	v_cndmask_b32_e64 v13, 0, -1, vcc_lo
	v_cmp_le_u32_e32 vcc_lo, s19, v10
	s_wait_alu 0xfffd
	v_cndmask_b32_e64 v14, 0, -1, vcc_lo
	v_cmp_le_u32_e32 vcc_lo, s18, v7
	;; [unrolled: 3-line block ×3, first 2 shown]
	s_wait_alu 0xfffd
	v_cndmask_b32_e64 v15, 0, -1, vcc_lo
	v_cmp_eq_u32_e32 vcc_lo, s19, v10
	s_wait_alu 0xf1ff
	s_delay_alu instid0(VALU_DEP_2)
	v_cndmask_b32_e64 v7, v15, v7, s2
	s_wait_alu 0xfffd
	v_cndmask_b32_e32 v10, v14, v13, vcc_lo
	v_add_co_u32 v13, vcc_lo, v4, 1
	s_wait_alu 0xfffd
	v_add_co_ci_u32_e32 v14, vcc_lo, 0, v9, vcc_lo
	s_delay_alu instid0(VALU_DEP_3) | instskip(SKIP_2) | instid1(VALU_DEP_3)
	v_cmp_ne_u32_e32 vcc_lo, 0, v10
	s_wait_alu 0xfffd
	v_cndmask_b32_e32 v10, v13, v11, vcc_lo
	v_cndmask_b32_e32 v8, v14, v12, vcc_lo
	v_cmp_ne_u32_e32 vcc_lo, 0, v7
	s_wait_alu 0xfffd
	s_delay_alu instid0(VALU_DEP_2)
	v_dual_cndmask_b32 v7, v4, v10 :: v_dual_cndmask_b32 v8, v9, v8
.LBB0_4:                                ;   in Loop: Header=BB0_2 Depth=1
	s_wait_alu 0xfffe
	s_and_not1_saveexec_b32 s2, s20
	s_cbranch_execz .LBB0_6
; %bb.5:                                ;   in Loop: Header=BB0_2 Depth=1
	v_cvt_f32_u32_e32 v4, s18
	s_sub_co_i32 s20, 0, s18
	s_delay_alu instid0(VALU_DEP_1) | instskip(NEXT) | instid1(TRANS32_DEP_1)
	v_rcp_iflag_f32_e32 v4, v4
	v_mul_f32_e32 v4, 0x4f7ffffe, v4
	s_delay_alu instid0(VALU_DEP_1) | instskip(SKIP_1) | instid1(VALU_DEP_1)
	v_cvt_u32_f32_e32 v4, v4
	s_wait_alu 0xfffe
	v_mul_lo_u32 v7, s20, v4
	s_delay_alu instid0(VALU_DEP_1) | instskip(NEXT) | instid1(VALU_DEP_1)
	v_mul_hi_u32 v7, v4, v7
	v_add_nc_u32_e32 v4, v4, v7
	s_delay_alu instid0(VALU_DEP_1) | instskip(NEXT) | instid1(VALU_DEP_1)
	v_mul_hi_u32 v4, v5, v4
	v_mul_lo_u32 v7, v4, s18
	v_add_nc_u32_e32 v8, 1, v4
	s_delay_alu instid0(VALU_DEP_2) | instskip(NEXT) | instid1(VALU_DEP_1)
	v_sub_nc_u32_e32 v7, v5, v7
	v_subrev_nc_u32_e32 v9, s18, v7
	v_cmp_le_u32_e32 vcc_lo, s18, v7
	s_wait_alu 0xfffd
	s_delay_alu instid0(VALU_DEP_2) | instskip(NEXT) | instid1(VALU_DEP_1)
	v_dual_cndmask_b32 v7, v7, v9 :: v_dual_cndmask_b32 v4, v4, v8
	v_cmp_le_u32_e32 vcc_lo, s18, v7
	s_delay_alu instid0(VALU_DEP_2) | instskip(SKIP_1) | instid1(VALU_DEP_1)
	v_add_nc_u32_e32 v8, 1, v4
	s_wait_alu 0xfffd
	v_dual_cndmask_b32 v7, v4, v8 :: v_dual_mov_b32 v8, v3
.LBB0_6:                                ;   in Loop: Header=BB0_2 Depth=1
	s_wait_alu 0xfffe
	s_or_b32 exec_lo, exec_lo, s2
	s_load_b64 s[20:21], s[12:13], 0x0
	s_delay_alu instid0(VALU_DEP_1)
	v_mul_lo_u32 v4, v8, s18
	v_mul_lo_u32 v11, v7, s19
	v_mad_co_u64_u32 v[9:10], null, v7, s18, 0
	s_add_nc_u64 s[14:15], s[14:15], 1
	s_add_nc_u64 s[12:13], s[12:13], 8
	s_wait_alu 0xfffe
	v_cmp_ge_u64_e64 s2, s[14:15], s[6:7]
	s_add_nc_u64 s[16:17], s[16:17], 8
	s_delay_alu instid0(VALU_DEP_2) | instskip(NEXT) | instid1(VALU_DEP_3)
	v_add3_u32 v4, v10, v11, v4
	v_sub_co_u32 v5, vcc_lo, v5, v9
	s_wait_alu 0xfffd
	s_delay_alu instid0(VALU_DEP_2) | instskip(SKIP_3) | instid1(VALU_DEP_2)
	v_sub_co_ci_u32_e32 v4, vcc_lo, v6, v4, vcc_lo
	s_and_b32 vcc_lo, exec_lo, s2
	s_wait_kmcnt 0x0
	v_mul_lo_u32 v6, s21, v5
	v_mul_lo_u32 v4, s20, v4
	v_mad_co_u64_u32 v[1:2], null, s20, v5, v[1:2]
	s_delay_alu instid0(VALU_DEP_1)
	v_add3_u32 v2, v6, v2, v4
	s_wait_alu 0xfffe
	s_cbranch_vccnz .LBB0_9
; %bb.7:                                ;   in Loop: Header=BB0_2 Depth=1
	v_dual_mov_b32 v5, v7 :: v_dual_mov_b32 v6, v8
	s_branch .LBB0_2
.LBB0_8:
	v_dual_mov_b32 v8, v6 :: v_dual_mov_b32 v7, v5
.LBB0_9:
	s_lshl_b64 s[2:3], s[6:7], 3
	v_mul_hi_u32 v3, 0x28f5c29, v0
	s_wait_alu 0xfffe
	s_add_nc_u64 s[2:3], s[10:11], s[2:3]
	s_load_b64 s[0:1], s[0:1], 0x20
	s_load_b64 s[2:3], s[2:3], 0x0
	s_delay_alu instid0(VALU_DEP_1) | instskip(NEXT) | instid1(VALU_DEP_1)
	v_mul_u32_u24_e32 v3, 0x64, v3
	v_sub_nc_u32_e32 v24, v0, v3
	s_delay_alu instid0(VALU_DEP_1)
	v_add_nc_u32_e32 v29, 0x64, v24
	v_add_nc_u32_e32 v37, 0xc8, v24
	;; [unrolled: 1-line block ×4, first 2 shown]
	s_wait_kmcnt 0x0
	v_cmp_gt_u64_e32 vcc_lo, s[0:1], v[7:8]
	v_mul_lo_u32 v3, s2, v8
	v_mul_lo_u32 v4, s3, v7
	v_mad_co_u64_u32 v[0:1], null, s2, v7, v[1:2]
	v_cmp_le_u64_e64 s0, s[0:1], v[7:8]
	v_add_nc_u32_e32 v34, 0x1f4, v24
	v_add_nc_u32_e32 v33, 0x258, v24
	;; [unrolled: 1-line block ×5, first 2 shown]
	v_add3_u32 v1, v4, v1, v3
	s_and_saveexec_b32 s1, s0
	s_wait_alu 0xfffe
	s_xor_b32 s0, exec_lo, s1
; %bb.10:
	v_add_nc_u32_e32 v29, 0x64, v24
	v_add_nc_u32_e32 v37, 0xc8, v24
	;; [unrolled: 1-line block ×9, first 2 shown]
; %bb.11:
	s_wait_alu 0xfffe
	s_or_saveexec_b32 s1, s0
	v_lshlrev_b64_e32 v[26:27], 2, v[0:1]
	s_wait_alu 0xfffe
	s_xor_b32 exec_lo, exec_lo, s1
	s_cbranch_execz .LBB0_13
; %bb.12:
	v_mov_b32_e32 v25, 0
	s_delay_alu instid0(VALU_DEP_2) | instskip(SKIP_2) | instid1(VALU_DEP_3)
	v_add_co_u32 v2, s0, s8, v26
	s_wait_alu 0xf1ff
	v_add_co_ci_u32_e64 v3, s0, s9, v27, s0
	v_lshlrev_b64_e32 v[0:1], 2, v[24:25]
	s_delay_alu instid0(VALU_DEP_1) | instskip(SKIP_1) | instid1(VALU_DEP_2)
	v_add_co_u32 v0, s0, v2, v0
	s_wait_alu 0xf1ff
	v_add_co_ci_u32_e64 v1, s0, v3, v1, s0
	s_clause 0x1d
	global_load_b32 v2, v[0:1], off
	global_load_b32 v3, v[0:1], off offset:400
	global_load_b32 v4, v[0:1], off offset:800
	;; [unrolled: 1-line block ×29, first 2 shown]
	v_lshl_add_u32 v1, v24, 2, 0
	s_delay_alu instid0(VALU_DEP_1)
	v_add_nc_u32_e32 v44, 0x400, v1
	v_add_nc_u32_e32 v43, 0x200, v1
	;; [unrolled: 1-line block ×14, first 2 shown]
	s_wait_loadcnt 0x1c
	ds_store_2addr_b32 v1, v2, v3 offset1:100
	s_wait_loadcnt 0x1a
	ds_store_2addr_b32 v43, v4, v5 offset0:72 offset1:172
	s_wait_loadcnt 0x18
	ds_store_2addr_b32 v44, v6, v7 offset0:144 offset1:244
	;; [unrolled: 2-line block ×14, first 2 shown]
.LBB0_13:
	s_or_b32 exec_lo, exec_lo, s1
	v_lshlrev_b32_e32 v25, 2, v24
	global_wb scope:SCOPE_SE
	s_wait_dscnt 0x0
	s_barrier_signal -1
	s_barrier_wait -1
	global_inv scope:SCOPE_SE
	v_add_nc_u32_e32 v40, 0, v25
	s_mov_b32 s1, exec_lo
	s_delay_alu instid0(VALU_DEP_1)
	v_add_nc_u32_e32 v54, 0x1400, v40
	v_add_nc_u32_e32 v52, 0x1e00, v40
	;; [unrolled: 1-line block ×5, first 2 shown]
	ds_load_2addr_b32 v[2:3], v54 offset0:120 offset1:220
	ds_load_2addr_b32 v[4:5], v52 offset0:80 offset1:180
	;; [unrolled: 1-line block ×4, first 2 shown]
	v_add_nc_u32_e32 v0, 0x200, v40
	v_add_nc_u32_e32 v56, 0xe00, v40
	;; [unrolled: 1-line block ×5, first 2 shown]
	ds_load_2addr_b32 v[0:1], v0 offset0:72 offset1:172
	ds_load_2addr_b32 v[10:11], v55 offset0:144 offset1:244
	;; [unrolled: 1-line block ×6, first 2 shown]
	s_wait_dscnt 0x9
	v_lshrrev_b32_e32 v15, 16, v2
	s_wait_dscnt 0x8
	v_add_f16_e32 v12, v2, v4
	s_wait_dscnt 0x7
	v_lshrrev_b32_e32 v13, 16, v6
	s_wait_dscnt 0x6
	v_lshrrev_b32_e32 v14, 16, v8
	v_lshrrev_b32_e32 v16, 16, v4
	v_sub_f16_e32 v17, v8, v4
	v_sub_f16_e32 v18, v6, v2
	v_add_f16_e32 v19, v6, v8
	v_sub_f16_e32 v20, v4, v8
	v_sub_f16_e32 v21, v2, v6
	s_wait_dscnt 0x5
	v_fma_f16 v39, -0.5, v12, v0
	v_sub_f16_e32 v12, v13, v14
	v_sub_f16_e32 v38, v15, v16
	v_add_f16_e32 v17, v18, v17
	v_fma_f16 v18, -0.5, v19, v0
	v_add_f16_e32 v19, v21, v20
	v_fmamk_f16 v20, v12, 0xbb9c, v39
	v_fmac_f16_e32 v39, 0x3b9c, v12
	v_lshrrev_b32_e32 v22, 16, v0
	v_add_f16_e32 v21, v15, v16
	v_fmamk_f16 v45, v38, 0x3b9c, v18
	v_fmac_f16_e32 v18, 0xbb9c, v38
	v_fmac_f16_e32 v20, 0xb8b4, v38
	v_fmac_f16_e32 v39, 0x38b4, v38
	v_add_f16_e32 v38, v13, v14
	v_sub_f16_e32 v23, v6, v8
	v_fma_f16 v49, -0.5, v21, v22
	v_fmac_f16_e32 v45, 0xb8b4, v12
	v_fmac_f16_e32 v18, 0x38b4, v12
	;; [unrolled: 1-line block ×4, first 2 shown]
	v_sub_f16_e32 v12, v2, v4
	v_sub_f16_e32 v17, v13, v15
	;; [unrolled: 1-line block ×3, first 2 shown]
	v_fmac_f16_e32 v22, -0.5, v38
	v_fmamk_f16 v53, v23, 0x3b9c, v49
	v_fmac_f16_e32 v45, 0x34f2, v19
	v_fmac_f16_e32 v18, 0x34f2, v19
	v_add_f16_e32 v17, v17, v21
	v_fmac_f16_e32 v49, 0xbb9c, v23
	s_wait_dscnt 0x1
	v_add_f16_e32 v19, v47, v61
	v_lshrrev_b32_e32 v21, 16, v42
	s_wait_dscnt 0x0
	v_lshrrev_b32_e32 v38, 16, v63
	v_fmamk_f16 v74, v12, 0xbb9c, v22
	v_lshrrev_b32_e32 v44, 16, v47
	v_lshrrev_b32_e32 v57, 16, v61
	v_sub_f16_e32 v13, v15, v13
	v_sub_f16_e32 v14, v16, v14
	;; [unrolled: 1-line block ×4, first 2 shown]
	v_fmac_f16_e32 v22, 0x3b9c, v12
	v_fmac_f16_e32 v53, 0x38b4, v12
	v_fmac_f16_e32 v49, 0xb8b4, v12
	v_fma_f16 v19, -0.5, v19, v11
	v_sub_f16_e32 v43, v21, v38
	v_fmac_f16_e32 v74, 0x38b4, v23
	v_add_f16_e32 v64, v42, v63
	v_add_f16_e32 v13, v13, v14
	;; [unrolled: 1-line block ×3, first 2 shown]
	v_fmac_f16_e32 v22, 0xb8b4, v23
	v_sub_f16_e32 v14, v61, v63
	v_sub_f16_e32 v23, v47, v42
	v_add_f16_e32 v58, v44, v57
	v_lshrrev_b32_e32 v68, 16, v11
	v_fmamk_f16 v15, v43, 0xbb9c, v19
	v_sub_f16_e32 v16, v44, v57
	v_fma_f16 v75, -0.5, v64, v11
	v_fmac_f16_e32 v19, 0x3b9c, v43
	v_add_f16_e32 v14, v23, v14
	v_add_f16_e32 v23, v21, v38
	v_fma_f16 v69, -0.5, v58, v68
	v_sub_f16_e32 v58, v42, v63
	v_fmac_f16_e32 v53, 0x34f2, v17
	v_fmac_f16_e32 v15, 0xb8b4, v16
	;; [unrolled: 1-line block ×3, first 2 shown]
	v_fmamk_f16 v17, v16, 0x3b9c, v75
	v_fmac_f16_e32 v19, 0x38b4, v16
	v_sub_f16_e32 v59, v47, v61
	v_fmac_f16_e32 v68, -0.5, v23
	v_fmac_f16_e32 v75, 0xbb9c, v16
	v_fmamk_f16 v16, v58, 0x3b9c, v69
	v_sub_f16_e32 v23, v21, v44
	v_sub_f16_e32 v64, v38, v57
	v_fmamk_f16 v65, v59, 0xbb9c, v68
	v_sub_f16_e32 v21, v44, v21
	v_fmac_f16_e32 v16, 0x38b4, v59
	v_sub_f16_e32 v38, v57, v38
	v_add_f16_e32 v23, v23, v64
	v_fmac_f16_e32 v68, 0x3b9c, v59
	v_fmac_f16_e32 v69, 0xbb9c, v58
	;; [unrolled: 1-line block ×3, first 2 shown]
	v_add_f16_e32 v21, v21, v38
	v_fmac_f16_e32 v16, 0x34f2, v23
	v_fmac_f16_e32 v15, 0x34f2, v12
	;; [unrolled: 1-line block ×5, first 2 shown]
	v_mul_f16_e32 v38, 0xb8b4, v16
	v_add_nc_u32_e32 v59, 0x1200, v40
	v_add_nc_u32_e32 v58, 0x1c00, v40
	v_fmac_f16_e32 v68, 0x34f2, v21
	v_fmac_f16_e32 v69, 0x34f2, v23
	;; [unrolled: 1-line block ×3, first 2 shown]
	v_mul_f16_e32 v79, 0x38b4, v15
	v_add_nc_u32_e32 v15, 0x800, v40
	v_add_nc_u32_e32 v57, 0x2400, v40
	v_mul_f16_e32 v76, 0xbb9c, v65
	v_mul_f16_e32 v80, 0x34f2, v65
	ds_load_2addr_b32 v[64:65], v59 offset0:48 offset1:148
	ds_load_2addr_b32 v[66:67], v58 offset0:8 offset1:108
	v_mul_f16_e32 v77, 0xbb9c, v68
	v_mul_f16_e32 v78, 0xb8b4, v69
	;; [unrolled: 1-line block ×4, first 2 shown]
	ds_load_2addr_b32 v[68:69], v15 offset0:88 offset1:188
	ds_load_2addr_b32 v[70:71], v57 offset0:96 offset1:196
	ds_load_2addr_b32 v[72:73], v40 offset1:100
	v_fmac_f16_e32 v17, 0xb8b4, v43
	v_fmac_f16_e32 v75, 0x38b4, v43
	;; [unrolled: 1-line block ×9, first 2 shown]
	v_add_f16_e32 v13, v20, v38
	v_fmac_f16_e32 v80, 0x3b9c, v17
	v_fmac_f16_e32 v76, 0x34f2, v17
	;; [unrolled: 1-line block ×4, first 2 shown]
	v_add_f16_e32 v21, v39, v78
	v_add_f16_e32 v43, v53, v79
	;; [unrolled: 1-line block ×3, first 2 shown]
	v_sub_f16_e32 v17, v20, v38
	v_sub_f16_e32 v19, v39, v78
	;; [unrolled: 1-line block ×3, first 2 shown]
	s_wait_dscnt 0x3
	v_add_f16_e32 v16, v65, v67
	v_sub_f16_e32 v39, v74, v80
	s_wait_dscnt 0x2
	v_lshrrev_b32_e32 v53, 16, v69
	s_wait_dscnt 0x1
	v_lshrrev_b32_e32 v74, 16, v71
	v_add_f16_e32 v12, v45, v76
	v_add_f16_e32 v14, v18, v77
	v_fmac_f16_e32 v81, 0x3b9c, v75
	v_sub_f16_e32 v38, v45, v76
	v_sub_f16_e32 v18, v18, v77
	s_wait_dscnt 0x0
	v_fma_f16 v75, -0.5, v16, v73
	v_lshrrev_b32_e32 v16, 16, v65
	v_lshrrev_b32_e32 v76, 16, v67
	v_add_f16_e32 v45, v69, v71
	v_sub_f16_e32 v77, v53, v74
	v_add_f16_e32 v44, v22, v81
	v_add_f16_e32 v23, v49, v82
	v_sub_f16_e32 v22, v22, v81
	v_sub_f16_e32 v78, v71, v67
	;; [unrolled: 1-line block ×4, first 2 shown]
	v_fma_f16 v81, -0.5, v45, v73
	v_sub_f16_e32 v45, v49, v82
	v_fmamk_f16 v49, v77, 0xbb9c, v75
	v_fmac_f16_e32 v75, 0x3b9c, v77
	v_sub_f16_e32 v82, v67, v71
	v_sub_f16_e32 v83, v65, v69
	v_add_f16_e32 v84, v16, v76
	v_lshrrev_b32_e32 v85, 16, v73
	v_add_f16_e32 v78, v79, v78
	v_fmamk_f16 v79, v80, 0x3b9c, v81
	v_fmac_f16_e32 v81, 0xbb9c, v80
	v_fmac_f16_e32 v49, 0xb8b4, v80
	;; [unrolled: 1-line block ×3, first 2 shown]
	v_add_f16_e32 v80, v83, v82
	v_fma_f16 v82, -0.5, v84, v85
	v_sub_f16_e32 v83, v69, v71
	v_pk_add_f16 v11, v11, v42
	v_add_f16_e32 v42, v53, v74
	v_fmac_f16_e32 v79, 0xb8b4, v77
	v_fmac_f16_e32 v81, 0x38b4, v77
	v_sub_f16_e32 v77, v53, v16
	v_sub_f16_e32 v84, v74, v76
	v_fmamk_f16 v86, v83, 0x3b9c, v82
	v_sub_f16_e32 v87, v65, v67
	v_fmac_f16_e32 v82, 0xbb9c, v83
	v_fmac_f16_e32 v85, -0.5, v42
	v_pk_add_f16 v42, v10, v41
	v_add_f16_e32 v77, v77, v84
	v_fmac_f16_e32 v86, 0x38b4, v87
	v_fmac_f16_e32 v82, 0xb8b4, v87
	v_pk_add_f16 v11, v11, v47
	v_pk_add_f16 v42, v42, v46
	v_sub_f16_e32 v16, v16, v53
	v_fmac_f16_e32 v86, 0x34f2, v77
	v_fmac_f16_e32 v82, 0x34f2, v77
	v_pk_add_f16 v11, v11, v61
	v_fmamk_f16 v47, v87, 0xbb9c, v85
	v_sub_f16_e32 v53, v76, v74
	v_fmac_f16_e32 v85, 0x3b9c, v87
	v_pk_add_f16 v42, v42, v60
	v_lshrrev_b32_e32 v61, 16, v62
	v_add_f16_e32 v76, v46, v60
	v_lshrrev_b32_e32 v77, 16, v41
	v_fmac_f16_e32 v79, 0x34f2, v80
	v_fmac_f16_e32 v81, 0x34f2, v80
	;; [unrolled: 1-line block ×3, first 2 shown]
	v_add_f16_e32 v53, v16, v53
	v_fmac_f16_e32 v85, 0xb8b4, v83
	v_pk_add_f16 v16, v42, v62
	v_add_f16_e32 v42, v41, v62
	v_lshrrev_b32_e32 v80, 16, v46
	v_lshrrev_b32_e32 v83, 16, v60
	v_fma_f16 v76, -0.5, v76, v10
	v_sub_f16_e32 v84, v77, v61
	v_fmac_f16_e32 v49, 0x34f2, v78
	v_fmac_f16_e32 v75, 0x34f2, v78
	v_pk_add_f16 v11, v11, v63
	v_sub_f16_e32 v63, v62, v60
	v_sub_f16_e32 v74, v60, v62
	;; [unrolled: 1-line block ×5, first 2 shown]
	v_fma_f16 v42, -0.5, v42, v10
	v_sub_f16_e32 v87, v80, v83
	v_sub_f16_e32 v46, v46, v60
	v_fmamk_f16 v60, v84, 0xbb9c, v76
	v_fmac_f16_e32 v76, 0x3b9c, v84
	v_add_f16_e32 v63, v78, v63
	v_fmamk_f16 v78, v87, 0x3b9c, v42
	v_fmac_f16_e32 v42, 0xbb9c, v87
	v_fmac_f16_e32 v60, 0xb8b4, v87
	;; [unrolled: 1-line block ×3, first 2 shown]
	v_add_f16_e32 v41, v41, v74
	v_lshrrev_b32_e32 v10, 16, v10
	v_add_f16_e32 v74, v80, v83
	v_fmac_f16_e32 v78, 0xb8b4, v84
	v_fmac_f16_e32 v42, 0x38b4, v84
	;; [unrolled: 1-line block ×4, first 2 shown]
	v_sub_f16_e32 v53, v77, v80
	v_sub_f16_e32 v84, v61, v83
	v_fmac_f16_e32 v60, 0x34f2, v63
	v_fma_f16 v74, -0.5, v74, v10
	v_fmac_f16_e32 v76, 0x34f2, v63
	v_add_f16_e32 v63, v77, v61
	v_add_f16_e32 v53, v53, v84
	v_sub_f16_e32 v77, v80, v77
	v_fmamk_f16 v84, v62, 0x3b9c, v74
	v_pk_add_f16 v69, v73, v69
	v_fmac_f16_e32 v10, -0.5, v63
	v_sub_f16_e32 v61, v83, v61
	v_fmac_f16_e32 v78, 0x34f2, v41
	v_fmac_f16_e32 v84, 0x38b4, v46
	;; [unrolled: 1-line block ×3, first 2 shown]
	v_fmamk_f16 v63, v46, 0xbb9c, v10
	v_fmac_f16_e32 v10, 0x3b9c, v46
	v_pk_add_f16 v41, v69, v65
	v_add_f16_e32 v61, v77, v61
	v_fmac_f16_e32 v84, 0x34f2, v53
	v_fmac_f16_e32 v74, 0xbb9c, v62
	;; [unrolled: 1-line block ×3, first 2 shown]
	v_pk_add_f16 v41, v41, v67
	v_fmac_f16_e32 v63, 0x38b4, v62
	v_mul_f16_e32 v65, 0xb8b4, v84
	v_fmac_f16_e32 v74, 0xb8b4, v46
	v_fmac_f16_e32 v10, 0x34f2, v61
	v_pk_add_f16 v62, v41, v71
	v_fmac_f16_e32 v63, 0x34f2, v61
	v_fmac_f16_e32 v65, 0x3a79, v60
	v_mul_f16_e32 v41, 0x38b4, v60
	v_mul_f16_e32 v60, 0xbb9c, v10
	;; [unrolled: 1-line block ×3, first 2 shown]
	v_fmac_f16_e32 v74, 0x34f2, v53
	v_mul_f16_e32 v46, 0xbb9c, v63
	v_fmac_f16_e32 v41, 0x3a79, v84
	v_fmac_f16_e32 v60, 0xb4f2, v42
	;; [unrolled: 1-line block ×3, first 2 shown]
	v_pk_add_f16 v42, v72, v68
	v_mul_f16_e32 v61, 0xb8b4, v74
	v_fmac_f16_e32 v46, 0x34f2, v78
	v_mul_f16_e32 v67, 0xba79, v74
	v_add_f16_e32 v53, v49, v65
	v_pk_add_f16 v42, v42, v64
	v_mul_f16_e32 v63, 0x34f2, v63
	v_fmac_f16_e32 v61, 0xba79, v76
	v_add_f16_e32 v69, v79, v46
	v_fmac_f16_e32 v67, 0x38b4, v76
	v_sub_f16_e32 v49, v49, v65
	v_sub_f16_e32 v46, v79, v46
	v_add_f16_e32 v65, v86, v41
	v_sub_f16_e32 v76, v86, v41
	v_pk_add_f16 v41, v42, v66
	v_lshrrev_b32_e32 v42, 16, v70
	v_add_f16_e32 v79, v64, v66
	v_lshrrev_b32_e32 v80, 16, v68
	v_fmac_f16_e32 v63, 0x3b9c, v78
	v_add_f16_e32 v73, v75, v61
	v_sub_f16_e32 v61, v75, v61
	v_add_f16_e32 v75, v85, v10
	v_sub_f16_e32 v10, v85, v10
	v_add_f16_e32 v77, v68, v70
	v_lshrrev_b32_e32 v83, 16, v64
	v_lshrrev_b32_e32 v84, 16, v66
	v_fma_f16 v79, -0.5, v79, v72
	v_sub_f16_e32 v85, v80, v42
	v_add_f16_e32 v71, v81, v60
	v_sub_f16_e32 v60, v81, v60
	v_add_f16_e32 v74, v47, v63
	v_sub_f16_e32 v47, v47, v63
	v_sub_f16_e32 v63, v70, v66
	v_pk_add_f16 v78, v41, v70
	v_sub_f16_e32 v41, v66, v70
	v_sub_f16_e32 v70, v68, v70
	;; [unrolled: 1-line block ×4, first 2 shown]
	v_fma_f16 v77, -0.5, v77, v72
	v_sub_f16_e32 v86, v83, v84
	v_sub_f16_e32 v64, v64, v66
	v_fmamk_f16 v66, v85, 0xbb9c, v79
	v_fmac_f16_e32 v79, 0x3b9c, v85
	v_add_f16_e32 v63, v81, v63
	v_fmamk_f16 v81, v86, 0x3b9c, v77
	v_fmac_f16_e32 v77, 0xbb9c, v86
	v_fmac_f16_e32 v66, 0xb8b4, v86
	;; [unrolled: 1-line block ×3, first 2 shown]
	v_lshrrev_b32_e32 v72, 16, v72
	v_add_f16_e32 v86, v83, v84
	v_pk_add_f16 v0, v0, v6
	v_add_f16_e32 v6, v80, v42
	v_add_f16_e32 v41, v68, v41
	v_fmac_f16_e32 v81, 0xb8b4, v85
	v_fmac_f16_e32 v77, 0x38b4, v85
	v_add_f16_e32 v68, v82, v67
	v_fma_f16 v85, -0.5, v86, v72
	v_sub_f16_e32 v67, v82, v67
	v_sub_f16_e32 v82, v80, v83
	;; [unrolled: 1-line block ×3, first 2 shown]
	v_pk_add_f16 v0, v0, v2
	v_fmac_f16_e32 v72, -0.5, v6
	v_pk_add_f16 v2, v1, v7
	v_fmac_f16_e32 v66, 0x34f2, v63
	v_fmamk_f16 v87, v70, 0x3b9c, v85
	v_fmac_f16_e32 v79, 0x34f2, v63
	v_fmac_f16_e32 v81, 0x34f2, v41
	v_add_f16_e32 v63, v82, v86
	v_fmac_f16_e32 v85, 0xbb9c, v70
	v_fmac_f16_e32 v77, 0x34f2, v41
	v_sub_f16_e32 v6, v83, v80
	v_pk_add_f16 v0, v0, v4
	v_fmamk_f16 v4, v64, 0xbb9c, v72
	v_pk_add_f16 v2, v2, v3
	v_sub_f16_e32 v41, v84, v42
	v_fmac_f16_e32 v72, 0x3b9c, v64
	v_add_f16_e32 v42, v7, v9
	v_lshrrev_b32_e32 v82, 16, v3
	v_lshrrev_b32_e32 v83, 16, v5
	v_fmac_f16_e32 v87, 0x38b4, v64
	v_fmac_f16_e32 v85, 0xb8b4, v64
	v_pk_add_f16 v0, v0, v8
	v_fmac_f16_e32 v4, 0x38b4, v70
	v_pk_add_f16 v2, v2, v5
	v_add_f16_e32 v6, v6, v41
	v_fmac_f16_e32 v72, 0xb8b4, v70
	v_lshrrev_b32_e32 v8, 16, v9
	v_sub_f16_e32 v41, v9, v5
	v_add_f16_e32 v64, v3, v5
	v_lshrrev_b32_e32 v70, 16, v7
	v_sub_f16_e32 v80, v7, v3
	v_fma_f16 v86, -0.5, v42, v1
	v_sub_f16_e32 v42, v82, v83
	v_fmac_f16_e32 v87, 0x34f2, v63
	v_fmac_f16_e32 v85, 0x34f2, v63
	v_pk_add_f16 v2, v2, v9
	v_sub_f16_e32 v63, v5, v9
	v_sub_f16_e32 v9, v7, v9
	v_fma_f16 v64, -0.5, v64, v1
	v_sub_f16_e32 v84, v70, v8
	v_sub_f16_e32 v7, v3, v7
	v_add_f16_e32 v41, v80, v41
	v_fmamk_f16 v80, v42, 0x3b9c, v86
	v_fmac_f16_e32 v86, 0xbb9c, v42
	v_sub_f16_e32 v3, v3, v5
	v_fmamk_f16 v5, v84, 0xbb9c, v64
	v_fmac_f16_e32 v64, 0x3b9c, v84
	v_add_f16_e32 v7, v7, v63
	v_fmac_f16_e32 v80, 0xb8b4, v84
	v_fmac_f16_e32 v86, 0x38b4, v84
	;; [unrolled: 1-line block ×4, first 2 shown]
	v_add_f16_e32 v6, v82, v83
	v_lshrrev_b32_e32 v1, 16, v1
	v_fmac_f16_e32 v5, 0xb8b4, v42
	v_fmac_f16_e32 v64, 0x38b4, v42
	;; [unrolled: 1-line block ×4, first 2 shown]
	v_fma_f16 v6, -0.5, v6, v1
	v_add_f16_e32 v7, v70, v8
	v_fmac_f16_e32 v5, 0x34f2, v41
	v_fmac_f16_e32 v64, 0x34f2, v41
	v_sub_f16_e32 v41, v70, v82
	v_sub_f16_e32 v42, v8, v83
	;; [unrolled: 1-line block ×3, first 2 shown]
	v_fmamk_f16 v70, v9, 0x3b9c, v6
	v_sub_f16_e32 v8, v83, v8
	v_fmac_f16_e32 v1, -0.5, v7
	v_add_f16_e32 v7, v41, v42
	v_fmac_f16_e32 v6, 0xbb9c, v9
	v_fmac_f16_e32 v70, 0x38b4, v3
	v_add_f16_e32 v8, v63, v8
	v_fmamk_f16 v63, v3, 0xbb9c, v1
	v_fmac_f16_e32 v1, 0x3b9c, v3
	v_fmac_f16_e32 v6, 0xb8b4, v3
	;; [unrolled: 1-line block ×3, first 2 shown]
	v_mul_u32_u24_e32 v41, 10, v24
	v_fmac_f16_e32 v63, 0x38b4, v9
	v_fmac_f16_e32 v1, 0xb8b4, v9
	v_mul_i32_i24_e32 v3, 10, v29
	v_mul_f16_e32 v9, 0xb8b4, v70
	v_fmac_f16_e32 v6, 0x34f2, v7
	v_fmac_f16_e32 v63, 0x34f2, v8
	v_mul_i32_i24_e32 v7, 10, v37
	v_fmac_f16_e32 v1, 0x34f2, v8
	v_lshl_add_u32 v82, v41, 2, 0
	v_fmac_f16_e32 v9, 0x3a79, v5
	v_mul_f16_e32 v8, 0xbb9c, v63
	v_mul_f16_e32 v5, 0x38b4, v5
	v_lshl_add_u32 v42, v3, 2, 0
	v_lshl_add_u32 v41, v7, 2, 0
	v_mul_f16_e32 v3, 0x34f2, v63
	v_mul_f16_e32 v7, 0xbb9c, v1
	;; [unrolled: 1-line block ×5, first 2 shown]
	v_fmac_f16_e32 v5, 0x3a79, v70
	v_fmac_f16_e32 v7, 0xb4f2, v86
	v_fmac_f16_e32 v63, 0xba79, v64
	v_fmac_f16_e32 v8, 0x34f2, v80
	v_fmac_f16_e32 v3, 0x3b9c, v80
	v_fmac_f16_e32 v1, 0x3b9c, v86
	v_fmac_f16_e32 v6, 0x38b4, v64
	v_add_f16_e32 v64, v66, v9
	v_add_f16_e32 v80, v77, v7
	v_sub_f16_e32 v7, v77, v7
	v_add_f16_e32 v77, v79, v63
	v_sub_f16_e32 v63, v79, v63
	;; [unrolled: 2-line block ×7, first 2 shown]
	v_sub_f16_e32 v6, v85, v6
	v_pack_b32_f16 v64, v64, v79
	v_pk_add_f16 v79, v78, v2
	v_pack_b32_f16 v4, v80, v4
	v_pack_b32_f16 v66, v66, v81
	v_pk_add_f16 v2, v78, v2 neg_lo:[0,1] neg_hi:[0,1]
	v_pack_b32_f16 v72, v77, v72
	v_pack_b32_f16 v3, v8, v3
	;; [unrolled: 1-line block ×5, first 2 shown]
	v_pk_add_f16 v83, v62, v16
	global_wb scope:SCOPE_SE
	s_barrier_signal -1
	s_barrier_wait -1
	global_inv scope:SCOPE_SE
	ds_store_2addr_b32 v82, v79, v64 offset1:1
	ds_store_2addr_b32 v82, v66, v4 offset0:2 offset1:3
	ds_store_2addr_b32 v82, v72, v2 offset0:4 offset1:5
	;; [unrolled: 1-line block ×4, first 2 shown]
	v_pack_b32_f16 v1, v53, v65
	v_pack_b32_f16 v2, v71, v75
	;; [unrolled: 1-line block ×3, first 2 shown]
	v_pk_add_f16 v4, v62, v16 neg_lo:[0,1] neg_hi:[0,1]
	v_pack_b32_f16 v5, v73, v68
	v_pack_b32_f16 v6, v46, v47
	;; [unrolled: 1-line block ×5, first 2 shown]
	v_and_b32_e32 v16, 0xff, v24
	ds_store_2addr_b32 v42, v83, v1 offset1:1
	ds_store_2addr_b32 v42, v3, v2 offset0:2 offset1:3
	ds_store_2addr_b32 v42, v5, v4 offset0:4 offset1:5
	;; [unrolled: 1-line block ×4, first 2 shown]
	v_pack_b32_f16 v3, v12, v15
	v_and_b32_e32 v15, 0xff, v29
	v_pk_add_f16 v70, v0, v11
	v_mul_lo_u16 v10, 0xcd, v16
	v_pack_b32_f16 v1, v13, v43
	v_pack_b32_f16 v2, v14, v44
	v_mul_lo_u16 v7, 0xcd, v15
	v_pack_b32_f16 v5, v21, v23
	v_lshrrev_b16 v53, 11, v10
	v_and_b32_e32 v14, 0xffff, v37
	v_pk_add_f16 v0, v0, v11 neg_lo:[0,1] neg_hi:[0,1]
	v_lshrrev_b16 v23, 11, v7
	v_pack_b32_f16 v6, v38, v39
	v_pack_b32_f16 v8, v17, v20
	v_mul_lo_u16 v4, v53, 10
	ds_store_2addr_b32 v41, v70, v1 offset1:1
	ds_store_2addr_b32 v41, v3, v2 offset0:2 offset1:3
	ds_store_2addr_b32 v41, v5, v0 offset0:4 offset1:5
	;; [unrolled: 1-line block ×3, first 2 shown]
	v_mul_lo_u16 v2, v23, 10
	v_mul_u32_u24_e32 v3, 0xcccd, v14
	v_pack_b32_f16 v9, v19, v45
	v_sub_nc_u16 v4, v24, v4
	v_pack_b32_f16 v10, v18, v22
	v_sub_nc_u16 v2, v29, v2
	v_lshrrev_b32_e32 v66, 19, v3
	v_and_b32_e32 v3, 0xffff, v36
	v_and_b32_e32 v68, 0xff, v4
	ds_store_2addr_b32 v41, v10, v9 offset0:8 offset1:9
	v_and_b32_e32 v69, 0xff, v2
	v_mul_lo_u16 v2, v66, 10
	v_mul_u32_u24_e32 v3, 0xcccd, v3
	v_lshlrev_b32_e32 v0, 3, v68
	global_wb scope:SCOPE_SE
	s_wait_dscnt 0x0
	v_lshlrev_b32_e32 v4, 3, v69
	v_sub_nc_u16 v5, v37, v2
	v_lshrrev_b32_e32 v62, 19, v3
	s_barrier_signal -1
	s_barrier_wait -1
	global_inv scope:SCOPE_SE
	s_clause 0x1
	global_load_b64 v[0:1], v0, s[4:5]
	global_load_b64 v[2:3], v4, s[4:5]
	v_and_b32_e32 v4, 0xffff, v35
	v_and_b32_e32 v70, 0xffff, v5
	v_mul_lo_u16 v5, v62, 10
	v_lshl_add_u32 v44, v36, 2, 0
	v_lshl_add_u32 v49, v35, 2, 0
	v_mul_u32_u24_e32 v4, 0xcccd, v4
	v_lshlrev_b32_e32 v6, 3, v70
	v_sub_nc_u16 v7, v36, v5
	v_lshl_add_u32 v47, v34, 2, 0
	v_lshl_add_u32 v46, v33, 2, 0
	v_lshrrev_b32_e32 v17, 19, v4
	global_load_b64 v[4:5], v6, s[4:5]
	v_and_b32_e32 v67, 0xffff, v7
	v_and_b32_e32 v6, 0xffff, v34
	v_lshl_add_u32 v45, v32, 2, 0
	v_mul_lo_u16 v7, v17, 10
	v_and_b32_e32 v53, 0xffff, v53
	v_lshlrev_b32_e32 v8, 3, v67
	v_mul_u32_u24_e32 v9, 0xcccd, v6
	v_lshlrev_b32_e32 v68, 2, v68
	v_sub_nc_u16 v10, v35, v7
	v_mul_u32_u24_e32 v53, 0x78, v53
	global_load_b64 v[6:7], v8, s[4:5]
	v_lshrrev_b32_e32 v18, 19, v9
	v_and_b32_e32 v8, 0xffff, v33
	v_and_b32_e32 v20, 0xffff, v10
	;; [unrolled: 1-line block ×3, first 2 shown]
	v_lshlrev_b32_e32 v69, 2, v69
	v_mul_lo_u16 v9, v18, 10
	v_mul_u32_u24_e32 v8, 0xcccd, v8
	v_lshlrev_b32_e32 v10, 3, v20
	v_mul_u32_u24_e32 v23, 0x78, v23
	v_mul_u32_u24_e32 v66, 0x78, v66
	v_sub_nc_u16 v11, v34, v9
	v_lshrrev_b32_e32 v19, 19, v8
	global_load_b64 v[8:9], v10, s[4:5]
	v_add3_u32 v23, 0, v23, v69
	v_lshlrev_b32_e32 v70, 2, v70
	v_and_b32_e32 v21, 0xffff, v11
	v_mul_lo_u16 v11, v19, 10
	v_mul_u32_u24_e32 v62, 0x78, v62
	v_lshlrev_b32_e32 v67, 2, v67
	v_add3_u32 v66, 0, v66, v70
	v_lshlrev_b32_e32 v12, 3, v21
	v_sub_nc_u16 v38, v33, v11
	v_mul_u32_u24_e32 v17, 0x78, v17
	v_add3_u32 v62, 0, v62, v67
	v_lshlrev_b32_e32 v20, 2, v20
	s_delay_alu instid0(VALU_DEP_4) | instskip(NEXT) | instid1(VALU_DEP_2)
	v_and_b32_e32 v63, 0xffff, v38
	v_add3_u32 v17, 0, v17, v20
	s_delay_alu instid0(VALU_DEP_2) | instskip(SKIP_3) | instid1(VALU_DEP_2)
	v_lshlrev_b32_e32 v38, 3, v63
	global_load_b64 v[60:61], v38, s[4:5]
	v_and_b32_e32 v10, 0xffff, v32
	v_and_b32_e32 v38, 0xffff, v28
	v_mul_u32_u24_e32 v13, 0xcccd, v10
	global_load_b64 v[10:11], v12, s[4:5]
	v_lshrrev_b32_e32 v22, 19, v13
	s_delay_alu instid0(VALU_DEP_1) | instskip(NEXT) | instid1(VALU_DEP_1)
	v_mul_lo_u16 v13, v22, 10
	v_sub_nc_u16 v13, v32, v13
	s_delay_alu instid0(VALU_DEP_1) | instskip(NEXT) | instid1(VALU_DEP_1)
	v_and_b32_e32 v71, 0xffff, v13
	v_lshlrev_b32_e32 v43, 3, v71
	global_load_b64 v[74:75], v43, s[4:5]
	v_and_b32_e32 v12, 0xffff, v31
	v_lshl_add_u32 v43, v31, 2, 0
	s_delay_alu instid0(VALU_DEP_2) | instskip(NEXT) | instid1(VALU_DEP_1)
	v_mul_u32_u24_e32 v12, 0xcccd, v12
	v_lshrrev_b32_e32 v39, 19, v12
	v_mul_u32_u24_e32 v12, 0xcccd, v38
	s_delay_alu instid0(VALU_DEP_2) | instskip(NEXT) | instid1(VALU_DEP_2)
	v_mul_lo_u16 v13, v39, 10
	v_lshrrev_b32_e32 v38, 19, v12
	s_delay_alu instid0(VALU_DEP_2) | instskip(NEXT) | instid1(VALU_DEP_2)
	v_sub_nc_u16 v12, v31, v13
	v_mul_lo_u16 v13, v38, 10
	s_delay_alu instid0(VALU_DEP_2) | instskip(NEXT) | instid1(VALU_DEP_2)
	v_and_b32_e32 v65, 0xffff, v12
	v_sub_nc_u16 v12, v28, v13
	s_delay_alu instid0(VALU_DEP_2) | instskip(NEXT) | instid1(VALU_DEP_2)
	v_lshlrev_b32_e32 v13, 3, v65
	v_and_b32_e32 v64, 0xffff, v12
	global_load_b64 v[76:77], v13, s[4:5]
	v_lshlrev_b32_e32 v12, 3, v64
	global_load_b64 v[12:13], v12, s[4:5]
	ds_load_2addr_b32 v[78:79], v52 offset0:80 offset1:180
	ds_load_2addr_b32 v[80:81], v56 offset0:104 offset1:204
	ds_load_u16 v86, v40 offset:4002
	ds_load_2addr_b32 v[82:83], v59 offset0:48 offset1:148
	ds_load_2addr_b32 v[84:85], v50 offset0:152 offset1:252
	ds_load_b32 v91, v44
	ds_load_b32 v92, v49
	;; [unrolled: 1-line block ×7, first 2 shown]
	s_wait_dscnt 0xb
	v_lshrrev_b32_e32 v87, 16, v78
	s_wait_dscnt 0xa
	v_lshrrev_b32_e32 v89, 16, v81
	v_lshrrev_b32_e32 v90, 16, v79
	s_wait_dscnt 0x8
	v_lshrrev_b32_e32 v98, 16, v82
	s_wait_dscnt 0x7
	v_lshrrev_b32_e32 v102, 16, v85
	s_wait_loadcnt 0x9
	v_lshrrev_b32_e32 v88, 16, v0
	v_lshrrev_b32_e32 v97, 16, v1
	s_wait_loadcnt 0x8
	v_lshrrev_b32_e32 v99, 16, v2
	s_delay_alu instid0(VALU_DEP_3) | instskip(SKIP_1) | instid1(VALU_DEP_2)
	v_mul_f16_e32 v96, v86, v88
	v_mul_f16_e32 v88, v88, v80
	v_fmac_f16_e32 v96, v0, v80
	v_mul_f16_e32 v80, v78, v97
	v_mul_f16_e32 v97, v87, v97
	s_delay_alu instid0(VALU_DEP_4)
	v_fma_f16 v86, v86, v0, -v88
	v_lshrrev_b32_e32 v0, 16, v3
	v_mul_f16_e32 v88, v89, v99
	v_fma_f16 v80, v87, v1, -v80
	v_fmac_f16_e32 v97, v78, v1
	v_mul_f16_e32 v1, v81, v99
	v_mul_f16_e32 v78, v90, v0
	;; [unrolled: 1-line block ×3, first 2 shown]
	s_wait_loadcnt 0x7
	v_lshrrev_b32_e32 v87, 16, v4
	v_fmac_f16_e32 v88, v81, v2
	v_lshrrev_b32_e32 v81, 16, v84
	v_fma_f16 v89, v89, v2, -v1
	v_fmac_f16_e32 v78, v79, v3
	v_lshrrev_b32_e32 v2, 16, v5
	v_fma_f16 v79, v90, v3, -v0
	v_mul_f16_e32 v3, v82, v87
	ds_load_2addr_b32 v[0:1], v54 offset0:120 offset1:220
	v_mul_f16_e32 v87, v98, v87
	v_mul_f16_e32 v99, v84, v2
	;; [unrolled: 1-line block ×3, first 2 shown]
	v_fma_f16 v98, v98, v4, -v3
	ds_load_2addr_b32 v[2:3], v57 offset0:96 offset1:196
	v_lshrrev_b32_e32 v90, 16, v83
	s_wait_loadcnt 0x6
	v_lshrrev_b32_e32 v100, 16, v6
	v_lshrrev_b32_e32 v103, 16, v7
	v_fma_f16 v81, v81, v5, -v99
	v_fmac_f16_e32 v87, v82, v4
	v_fmac_f16_e32 v101, v84, v5
	v_mul_f16_e32 v104, v90, v100
	v_mul_f16_e32 v82, v102, v103
	;; [unrolled: 1-line block ×4, first 2 shown]
	s_delay_alu instid0(VALU_DEP_4)
	v_fmac_f16_e32 v104, v83, v6
	s_wait_loadcnt 0x5
	v_lshrrev_b32_e32 v83, 16, v8
	v_fmac_f16_e32 v82, v85, v7
	v_fma_f16 v85, v90, v6, -v4
	v_fma_f16 v90, v102, v7, -v5
	ds_load_2addr_b32 v[4:5], v51 offset0:64 offset1:164
	s_wait_dscnt 0x2
	v_lshrrev_b32_e32 v84, 16, v0
	v_mul_f16_e32 v6, v0, v83
	v_lshrrev_b32_e32 v7, 16, v9
	s_wait_dscnt 0x1
	v_lshrrev_b32_e32 v99, 16, v2
	v_lshrrev_b32_e32 v102, 16, v1
	v_mul_f16_e32 v83, v84, v83
	v_fma_f16 v84, v84, v8, -v6
	v_mul_f16_e32 v100, v2, v7
	v_mul_f16_e32 v105, v99, v7
	v_lshrrev_b32_e32 v106, 16, v3
	ds_load_2addr_b32 v[6:7], v30 offset0:40 offset1:140
	v_fmac_f16_e32 v83, v0, v8
	v_fma_f16 v99, v99, v9, -v100
	v_fmac_f16_e32 v105, v2, v9
	s_wait_loadcnt 0x4
	v_lshrrev_b32_e32 v100, 16, v61
	s_wait_loadcnt 0x3
	v_lshrrev_b32_e32 v103, 16, v10
	v_lshrrev_b32_e32 v107, 16, v11
	s_delay_alu instid0(VALU_DEP_2) | instskip(NEXT) | instid1(VALU_DEP_2)
	v_mul_f16_e32 v108, v102, v103
	v_mul_f16_e32 v8, v106, v107
	;; [unrolled: 1-line block ×4, first 2 shown]
	s_wait_dscnt 0x1
	v_lshrrev_b32_e32 v107, 16, v5
	v_fmac_f16_e32 v108, v1, v10
	v_lshrrev_b32_e32 v1, 16, v60
	v_fmac_f16_e32 v8, v3, v11
	v_lshrrev_b32_e32 v3, 16, v4
	v_fma_f16 v9, v102, v10, -v0
	v_fma_f16 v11, v106, v11, -v2
	v_mul_f16_e32 v10, v4, v1
	s_wait_dscnt 0x0
	v_lshrrev_b32_e32 v103, 16, v6
	v_mul_f16_e32 v102, v3, v1
	ds_load_2addr_b32 v[0:1], v58 offset0:8 offset1:108
	v_lshrrev_b32_e32 v110, 16, v7
	v_fma_f16 v10, v3, v60, -v10
	ds_load_2addr_b32 v[2:3], v48 offset0:112 offset1:212
	v_mul_f16_e32 v106, v6, v100
	v_mul_f16_e32 v100, v103, v100
	v_fmac_f16_e32 v102, v4, v60
	s_delay_alu instid0(VALU_DEP_3) | instskip(SKIP_4) | instid1(VALU_DEP_3)
	v_fma_f16 v103, v103, v61, -v106
	s_wait_loadcnt 0x2
	v_lshrrev_b32_e32 v109, 16, v74
	v_lshrrev_b32_e32 v111, 16, v75
	v_fmac_f16_e32 v100, v6, v61
	v_mul_f16_e32 v112, v107, v109
	s_delay_alu instid0(VALU_DEP_3) | instskip(SKIP_1) | instid1(VALU_DEP_3)
	v_mul_f16_e32 v4, v110, v111
	v_mul_f16_e32 v6, v7, v111
	v_fmac_f16_e32 v112, v5, v74
	v_mul_f16_e32 v5, v5, v109
	s_delay_alu instid0(VALU_DEP_4)
	v_fmac_f16_e32 v4, v7, v75
	s_wait_dscnt 0x1
	v_lshrrev_b32_e32 v60, 16, v0
	v_fma_f16 v6, v110, v75, -v6
	s_wait_dscnt 0x0
	v_lshrrev_b32_e32 v75, 16, v2
	v_fma_f16 v5, v107, v74, -v5
	v_lshrrev_b32_e32 v107, 16, v1
	v_lshrrev_b32_e32 v110, 16, v3
	s_wait_loadcnt 0x1
	v_lshrrev_b32_e32 v7, 16, v76
	v_lshrrev_b32_e32 v61, 16, v77
	s_delay_alu instid0(VALU_DEP_2)
	v_mul_f16_e32 v74, v0, v7
	s_wait_loadcnt 0x0
	v_lshrrev_b32_e32 v109, 16, v12
	v_mul_f16_e32 v7, v60, v7
	v_mul_f16_e32 v111, v75, v61
	;; [unrolled: 1-line block ×3, first 2 shown]
	v_fma_f16 v74, v60, v76, -v74
	v_lshrrev_b32_e32 v60, 16, v13
	v_mul_f16_e32 v113, v107, v109
	v_fmac_f16_e32 v7, v0, v76
	v_fmac_f16_e32 v111, v2, v77
	v_lshrrev_b32_e32 v76, 16, v95
	v_mul_f16_e32 v0, v110, v60
	v_fmac_f16_e32 v113, v1, v12
	v_mul_f16_e32 v1, v1, v109
	v_mul_f16_e32 v2, v3, v60
	v_mad_i32_i24 v60, 0xffffffdc, v37, v41
	v_fmac_f16_e32 v0, v3, v13
	v_add_f16_e32 v3, v96, v97
	v_fma_f16 v1, v107, v12, -v1
	v_add_f16_e32 v12, v86, v80
	v_mad_i32_i24 v61, 0xffffffdc, v29, v42
	v_fma_f16 v75, v75, v77, -v106
	v_add_f16_e32 v77, v95, v96
	v_fmac_f16_e32 v95, -0.5, v3
	v_add_f16_e32 v3, v76, v86
	v_fmac_f16_e32 v76, -0.5, v12
	v_sub_f16_e32 v12, v86, v80
	ds_load_b32 v86, v60
	ds_load_b32 v106, v61
	v_sub_f16_e32 v96, v96, v97
	v_add_f16_e32 v3, v3, v80
	v_add_f16_e32 v77, v77, v97
	v_fmamk_f16 v80, v12, 0xbaee, v95
	v_fmac_f16_e32 v95, 0x3aee, v12
	v_fmamk_f16 v97, v96, 0x3aee, v76
	v_fmac_f16_e32 v76, 0xbaee, v96
	v_fma_f16 v2, v110, v13, -v2
	v_add3_u32 v13, 0, v53, v68
	v_lshl_add_u32 v53, v28, 2, 0
	v_pack_b32_f16 v3, v77, v3
	v_pack_b32_f16 v68, v80, v97
	;; [unrolled: 1-line block ×3, first 2 shown]
	ds_load_b32 v12, v53
	global_wb scope:SCOPE_SE
	s_wait_dscnt 0x0
	s_barrier_signal -1
	s_barrier_wait -1
	global_inv scope:SCOPE_SE
	v_lshrrev_b32_e32 v77, 16, v106
	ds_store_2addr_b32 v13, v3, v68 offset1:10
	v_add_f16_e32 v3, v88, v78
	ds_store_b32 v13, v76 offset:80
	v_add_f16_e32 v76, v89, v79
	v_add_f16_e32 v13, v77, v89
	;; [unrolled: 1-line block ×3, first 2 shown]
	v_fmac_f16_e32 v106, -0.5, v3
	v_sub_f16_e32 v3, v89, v79
	v_fmac_f16_e32 v77, -0.5, v76
	v_sub_f16_e32 v76, v88, v78
	v_add_f16_e32 v13, v13, v79
	v_add_f16_e32 v68, v68, v78
	v_fmamk_f16 v78, v3, 0xbaee, v106
	v_fmac_f16_e32 v106, 0x3aee, v3
	v_fmamk_f16 v3, v76, 0x3aee, v77
	v_fmac_f16_e32 v77, 0xbaee, v76
	v_lshrrev_b32_e32 v76, 16, v86
	v_pack_b32_f16 v13, v68, v13
	v_add_f16_e32 v68, v87, v101
	v_pack_b32_f16 v3, v78, v3
	v_add_f16_e32 v78, v86, v87
	v_add_f16_e32 v69, v76, v98
	v_sub_f16_e32 v79, v98, v81
	v_fmac_f16_e32 v86, -0.5, v68
	v_add_f16_e32 v68, v98, v81
	v_add_f16_e32 v78, v78, v101
	;; [unrolled: 1-line block ×4, first 2 shown]
	v_fmamk_f16 v70, v79, 0xbaee, v86
	v_fmac_f16_e32 v76, -0.5, v68
	v_sub_f16_e32 v68, v87, v101
	v_pack_b32_f16 v69, v78, v69
	v_lshrrev_b32_e32 v78, 16, v91
	v_fmac_f16_e32 v86, 0x3aee, v79
	v_add_f16_e32 v79, v104, v82
	v_fmamk_f16 v80, v68, 0x3aee, v76
	v_fmac_f16_e32 v76, 0xbaee, v68
	v_add_f16_e32 v68, v78, v85
	v_add_f16_e32 v87, v91, v104
	v_fmac_f16_e32 v91, -0.5, v79
	v_sub_f16_e32 v79, v85, v90
	v_fmac_f16_e32 v78, -0.5, v81
	v_sub_f16_e32 v81, v104, v82
	v_add_f16_e32 v68, v68, v90
	v_add_f16_e32 v82, v87, v82
	v_fmamk_f16 v85, v79, 0xbaee, v91
	v_pack_b32_f16 v77, v106, v77
	v_fmamk_f16 v87, v81, 0x3aee, v78
	v_pack_b32_f16 v70, v70, v80
	v_pack_b32_f16 v76, v86, v76
	;; [unrolled: 1-line block ×3, first 2 shown]
	v_fmac_f16_e32 v91, 0x3aee, v79
	v_pack_b32_f16 v68, v85, v87
	ds_store_2addr_b32 v23, v13, v3 offset1:10
	ds_store_b32 v23, v77 offset:80
	ds_store_2addr_b32 v66, v69, v70 offset1:10
	ds_store_b32 v66, v76 offset:80
	ds_store_2addr_b32 v62, v67, v68 offset1:10
	v_add_f16_e32 v3, v83, v105
	v_lshrrev_b32_e32 v13, 16, v92
	v_fmac_f16_e32 v78, 0xbaee, v81
	v_add_f16_e32 v23, v84, v99
	v_add_f16_e32 v66, v92, v83
	v_fmac_f16_e32 v92, -0.5, v3
	v_add_f16_e32 v3, v13, v84
	v_sub_f16_e32 v67, v84, v99
	v_fmac_f16_e32 v13, -0.5, v23
	v_add_f16_e32 v23, v66, v105
	v_pack_b32_f16 v66, v91, v78
	v_sub_f16_e32 v68, v83, v105
	v_fmamk_f16 v69, v67, 0xbaee, v92
	v_fmac_f16_e32 v92, 0x3aee, v67
	v_lshrrev_b32_e32 v67, 16, v93
	ds_store_b32 v62, v66 offset:80
	v_add_f16_e32 v62, v108, v8
	v_fmamk_f16 v66, v68, 0x3aee, v13
	v_fmac_f16_e32 v13, 0xbaee, v68
	v_add_f16_e32 v68, v9, v11
	v_add_f16_e32 v70, v93, v108
	v_fmac_f16_e32 v93, -0.5, v62
	v_sub_f16_e32 v62, v9, v11
	v_add_f16_e32 v9, v67, v9
	v_fmac_f16_e32 v67, -0.5, v68
	v_sub_f16_e32 v68, v108, v8
	v_add_f16_e32 v8, v70, v8
	v_fmamk_f16 v70, v62, 0xbaee, v93
	v_fmac_f16_e32 v93, 0x3aee, v62
	v_add_f16_e32 v9, v9, v11
	v_fmamk_f16 v11, v68, 0x3aee, v67
	v_add_f16_e32 v62, v102, v100
	v_fmac_f16_e32 v67, 0xbaee, v68
	v_lshrrev_b32_e32 v68, 16, v94
	v_add_f16_e32 v76, v10, v103
	v_add_f16_e32 v77, v94, v102
	v_fmac_f16_e32 v94, -0.5, v62
	v_sub_f16_e32 v62, v10, v103
	v_add_f16_e32 v10, v68, v10
	v_fmac_f16_e32 v68, -0.5, v76
	v_sub_f16_e32 v76, v102, v100
	v_add_f16_e32 v79, v112, v4
	v_fmamk_f16 v78, v62, 0xbaee, v94
	v_fmac_f16_e32 v94, 0x3aee, v62
	v_add_f16_e32 v80, v5, v6
	v_fmamk_f16 v62, v76, 0x3aee, v68
	v_fmac_f16_e32 v68, 0xbaee, v76
	v_lshrrev_b32_e32 v76, 16, v73
	v_add_f16_e32 v81, v73, v112
	v_fmac_f16_e32 v73, -0.5, v79
	v_sub_f16_e32 v79, v5, v6
	v_lshrrev_b32_e32 v82, 16, v72
	v_add_f16_e32 v5, v76, v5
	v_fmac_f16_e32 v76, -0.5, v80
	v_sub_f16_e32 v80, v112, v4
	v_add_f16_e32 v4, v81, v4
	v_fmamk_f16 v81, v79, 0xbaee, v73
	v_fmac_f16_e32 v73, 0x3aee, v79
	v_add_f16_e32 v5, v5, v6
	v_fmamk_f16 v6, v80, 0x3aee, v76
	v_add_f16_e32 v79, v7, v111
	v_fmac_f16_e32 v76, 0xbaee, v80
	v_add_f16_e32 v80, v74, v75
	v_add_f16_e32 v83, v72, v7
	v_lshrrev_b32_e32 v85, 16, v12
	v_fmac_f16_e32 v72, -0.5, v79
	v_add_f16_e32 v79, v82, v74
	v_sub_f16_e32 v74, v74, v75
	v_fmac_f16_e32 v82, -0.5, v80
	v_add_f16_e32 v80, v83, v111
	v_add_f16_e32 v83, v113, v0
	;; [unrolled: 1-line block ×3, first 2 shown]
	v_fmamk_f16 v84, v74, 0xbaee, v72
	v_fmac_f16_e32 v72, 0x3aee, v74
	v_add_f16_e32 v74, v79, v75
	v_fmac_f16_e32 v12, -0.5, v83
	v_sub_f16_e32 v83, v1, v2
	v_add_f16_e32 v79, v85, v1
	v_add_f16_e32 v1, v1, v2
	;; [unrolled: 1-line block ×3, first 2 shown]
	v_pack_b32_f16 v20, v69, v66
	v_pack_b32_f16 v13, v92, v13
	v_add_f16_e32 v77, v77, v100
	v_fmac_f16_e32 v85, -0.5, v1
	v_add_f16_e32 v1, v86, v0
	v_sub_f16_e32 v0, v113, v0
	v_pack_b32_f16 v3, v23, v3
	v_add_f16_e32 v10, v10, v103
	ds_store_2addr_b32 v17, v3, v20 offset1:10
	ds_store_b32 v17, v13 offset:80
	v_fmamk_f16 v23, v0, 0x3aee, v85
	v_fmac_f16_e32 v85, 0xbaee, v0
	v_mul_u32_u24_e32 v0, 0x78, v18
	v_lshlrev_b32_e32 v18, 2, v21
	v_mul_u32_u24_e32 v3, 0x78, v19
	v_lshlrev_b32_e32 v13, 2, v63
	v_sub_f16_e32 v7, v7, v111
	v_pack_b32_f16 v8, v8, v9
	v_add3_u32 v0, 0, v0, v18
	v_pack_b32_f16 v9, v70, v11
	v_mul_u32_u24_e32 v17, 0x78, v22
	v_lshlrev_b32_e32 v18, 2, v71
	v_pack_b32_f16 v11, v93, v67
	v_add3_u32 v3, 0, v3, v13
	v_pack_b32_f16 v10, v77, v10
	v_pack_b32_f16 v13, v78, v62
	;; [unrolled: 1-line block ×3, first 2 shown]
	v_mul_lo_u16 v5, 0x89, v16
	v_fmamk_f16 v75, v7, 0x3aee, v82
	ds_store_2addr_b32 v0, v8, v9 offset1:10
	ds_store_b32 v0, v11 offset:80
	ds_store_2addr_b32 v3, v10, v13 offset1:10
	v_pack_b32_f16 v0, v94, v68
	v_add3_u32 v8, 0, v17, v18
	v_pack_b32_f16 v6, v81, v6
	v_mul_u32_u24_e32 v9, 0x78, v39
	v_lshlrev_b32_e32 v10, 2, v65
	v_lshrrev_b16 v67, 12, v5
	v_fmac_f16_e32 v82, 0xbaee, v7
	ds_store_b32 v3, v0 offset:80
	ds_store_2addr_b32 v8, v4, v6 offset1:10
	v_pack_b32_f16 v0, v73, v76
	v_add3_u32 v3, 0, v9, v10
	v_pack_b32_f16 v4, v80, v74
	v_pack_b32_f16 v6, v84, v75
	v_mul_lo_u16 v5, v67, 30
	ds_store_b32 v8, v0 offset:80
	v_fmamk_f16 v7, v83, 0xbaee, v12
	v_add_f16_e32 v2, v79, v2
	ds_store_2addr_b32 v3, v4, v6 offset1:10
	v_pack_b32_f16 v4, v72, v82
	v_sub_nc_u16 v0, v24, v5
	v_mul_u32_u24_e32 v9, 0x78, v38
	v_lshlrev_b32_e32 v10, 2, v64
	v_fmac_f16_e32 v12, 0x3aee, v83
	ds_store_b32 v3, v4 offset:80
	v_mul_lo_u16 v3, 0x89, v15
	v_and_b32_e32 v68, 0xff, v0
	v_add3_u32 v5, 0, v9, v10
	v_pack_b32_f16 v1, v1, v2
	v_pack_b32_f16 v0, v7, v23
	v_lshrrev_b16 v63, 12, v3
	v_pack_b32_f16 v2, v12, v85
	v_mul_u32_u24_e32 v4, 9, v68
	ds_store_2addr_b32 v5, v1, v0 offset1:10
	ds_store_b32 v5, v2 offset:80
	v_mul_lo_u16 v0, v63, 30
	v_lshlrev_b32_e32 v38, 2, v4
	global_wb scope:SCOPE_SE
	s_wait_dscnt 0x0
	s_barrier_signal -1
	s_barrier_wait -1
	v_sub_nc_u16 v0, v29, v0
	global_inv scope:SCOPE_SE
	global_load_b128 v[4:7], v38, s[4:5] offset:80
	v_and_b32_e32 v67, 0xffff, v67
	v_lshlrev_b32_e32 v68, 2, v68
	v_and_b32_e32 v64, 0xff, v0
	v_mul_u32_u24_e32 v0, 0x8889, v14
	v_and_b32_e32 v63, 0xffff, v63
	v_mul_u32_u24_e32 v67, 0x4b0, v67
	s_delay_alu instid0(VALU_DEP_4) | instskip(NEXT) | instid1(VALU_DEP_4)
	v_mul_u32_u24_e32 v1, 9, v64
	v_lshrrev_b32_e32 v65, 20, v0
	s_delay_alu instid0(VALU_DEP_4) | instskip(SKIP_1) | instid1(VALU_DEP_4)
	v_mul_u32_u24_e32 v63, 0x4b0, v63
	v_lshlrev_b32_e32 v64, 2, v64
	v_lshlrev_b32_e32 v39, 2, v1
	s_delay_alu instid0(VALU_DEP_4) | instskip(NEXT) | instid1(VALU_DEP_3)
	v_mul_lo_u16 v0, v65, 30
	v_add3_u32 v63, 0, v63, v64
	global_load_b128 v[12:15], v39, s[4:5] offset:80
	v_sub_nc_u16 v0, v37, v0
	s_delay_alu instid0(VALU_DEP_1) | instskip(NEXT) | instid1(VALU_DEP_1)
	v_and_b32_e32 v66, 0xffff, v0
	v_mul_u32_u24_e32 v0, 9, v66
	s_delay_alu instid0(VALU_DEP_1)
	v_lshlrev_b32_e32 v62, 2, v0
	s_clause 0x6
	global_load_b128 v[8:11], v62, s[4:5] offset:80
	global_load_b128 v[0:3], v38, s[4:5] offset:96
	;; [unrolled: 1-line block ×4, first 2 shown]
	global_load_b32 v70, v38, s[4:5] offset:112
	global_load_b32 v69, v39, s[4:5] offset:112
	;; [unrolled: 1-line block ×3, first 2 shown]
	ds_load_b32 v74, v44
	ds_load_2addr_b32 v[38:39], v59 offset0:48 offset1:148
	ds_load_b32 v73, v46
	ds_load_b32 v75, v61
	;; [unrolled: 1-line block ×3, first 2 shown]
	ds_load_u16 v82, v53 offset:2
	ds_load_b32 v83, v53
	v_add_nc_u32_e32 v62, 0xa00, v40
	ds_load_b32 v85, v40
	ds_load_2addr_b32 v[76:77], v55 offset0:144 offset1:244
	ds_load_2addr_b32 v[78:79], v62 offset0:60 offset1:160
	;; [unrolled: 1-line block ×3, first 2 shown]
	s_wait_dscnt 0xa
	v_lshrrev_b32_e32 v86, 16, v74
	s_wait_dscnt 0x9
	v_lshrrev_b32_e32 v87, 16, v38
	;; [unrolled: 2-line block ×3, first 2 shown]
	v_lshrrev_b32_e32 v91, 16, v39
	s_wait_dscnt 0x0
	v_lshrrev_b32_e32 v100, 16, v81
	s_wait_loadcnt 0x8
	v_lshrrev_b32_e32 v84, 16, v4
	v_lshrrev_b32_e32 v88, 16, v5
	;; [unrolled: 1-line block ×3, first 2 shown]
	s_delay_alu instid0(VALU_DEP_3) | instskip(SKIP_1) | instid1(VALU_DEP_2)
	v_mul_f16_e32 v89, v84, v86
	v_mul_f16_e32 v84, v84, v74
	v_fmac_f16_e32 v89, v4, v74
	v_mul_f16_e32 v74, v88, v90
	v_mul_f16_e32 v88, v88, v73
	s_delay_alu instid0(VALU_DEP_4)
	v_fma_f16 v84, v4, v86, -v84
	v_lshrrev_b32_e32 v4, 16, v7
	v_mul_f16_e32 v86, v82, v92
	v_fmac_f16_e32 v74, v5, v73
	v_fma_f16 v88, v5, v90, -v88
	v_mul_f16_e32 v5, v92, v83
	v_mul_f16_e32 v90, v87, v4
	;; [unrolled: 1-line block ×3, first 2 shown]
	s_wait_loadcnt 0x7
	v_lshrrev_b32_e32 v73, 16, v15
	v_fmac_f16_e32 v86, v6, v83
	v_fma_f16 v92, v82, v6, -v5
	v_fmac_f16_e32 v90, v38, v7
	v_fma_f16 v87, v87, v7, -v4
	v_lshrrev_b32_e32 v4, 16, v12
	v_lshrrev_b32_e32 v5, 16, v76
	;; [unrolled: 1-line block ×3, first 2 shown]
	v_mul_f16_e32 v93, v91, v73
	v_lshrrev_b32_e32 v6, 16, v78
	v_mul_f16_e32 v82, v76, v4
	v_lshrrev_b32_e32 v83, 16, v14
	v_mul_f16_e32 v94, v39, v73
	v_mul_f16_e32 v73, v78, v7
	;; [unrolled: 1-line block ×3, first 2 shown]
	v_lshrrev_b32_e32 v4, 16, v80
	v_fmac_f16_e32 v93, v39, v15
	v_mul_f16_e32 v95, v80, v83
	v_fma_f16 v39, v5, v12, -v82
	v_mul_f16_e32 v96, v6, v7
	v_fma_f16 v97, v6, v13, -v73
	v_mul_f16_e32 v98, v4, v83
	v_lshrrev_b32_e32 v5, 16, v77
	s_wait_loadcnt 0x6
	v_lshrrev_b32_e32 v6, 16, v8
	ds_load_2addr_b32 v[82:83], v54 offset0:120 offset1:220
	v_fma_f16 v73, v4, v14, -v95
	v_lshrrev_b32_e32 v95, 16, v79
	v_lshrrev_b32_e32 v99, 16, v9
	v_mul_f16_e32 v4, v5, v6
	v_fmac_f16_e32 v38, v76, v12
	v_mul_f16_e32 v6, v77, v6
	v_fmac_f16_e32 v96, v78, v13
	;; [unrolled: 2-line block ×3, first 2 shown]
	ds_load_2addr_b32 v[76:77], v58 offset0:8 offset1:108
	v_lshrrev_b32_e32 v13, 16, v10
	v_fma_f16 v91, v91, v15, -v94
	v_fmac_f16_e32 v12, v79, v9
	v_mul_f16_e32 v15, v79, v99
	v_fma_f16 v5, v5, v8, -v6
	v_mul_f16_e32 v7, v100, v13
	v_mul_f16_e32 v94, v81, v13
	v_lshrrev_b32_e32 v13, 16, v11
	ds_load_2addr_b32 v[78:79], v52 offset0:80 offset1:180
	s_wait_dscnt 0x2
	v_lshrrev_b32_e32 v8, 16, v82
	v_fmac_f16_e32 v98, v80, v14
	v_fmac_f16_e32 v7, v81, v10
	v_mul_f16_e32 v99, v82, v13
	ds_load_2addr_b32 v[80:81], v57 offset0:96 offset1:196
	s_wait_loadcnt 0x5
	v_lshrrev_b32_e32 v102, 16, v0
	v_mul_f16_e32 v14, v8, v13
	v_lshrrev_b32_e32 v101, 16, v83
	v_fma_f16 v13, v95, v9, -v15
	v_fma_f16 v6, v100, v10, -v94
	;; [unrolled: 1-line block ×3, first 2 shown]
	v_fmac_f16_e32 v14, v82, v11
	v_lshrrev_b32_e32 v8, 16, v1
	v_mul_f16_e32 v9, v83, v102
	s_wait_dscnt 0x2
	v_lshrrev_b32_e32 v11, 16, v76
	v_mul_f16_e32 v94, v101, v102
	v_lshrrev_b32_e32 v15, 16, v2
	v_mul_f16_e32 v82, v76, v8
	v_fma_f16 v95, v101, v0, -v9
	v_mul_f16_e32 v99, v11, v8
	ds_load_2addr_b32 v[8:9], v51 offset0:64 offset1:164
	v_fmac_f16_e32 v94, v83, v0
	s_wait_dscnt 0x2
	v_lshrrev_b32_e32 v0, 16, v79
	v_mul_f16_e32 v83, v79, v15
	v_fma_f16 v100, v11, v1, -v82
	v_lshrrev_b32_e32 v11, 16, v3
	s_wait_dscnt 0x1
	v_lshrrev_b32_e32 v101, 16, v80
	v_mul_f16_e32 v102, v0, v15
	v_fma_f16 v103, v0, v2, -v83
	ds_load_2addr_b32 v[82:83], v50 offset0:152 offset1:252
	v_mul_f16_e32 v0, v80, v11
	v_lshrrev_b32_e32 v15, 16, v77
	s_wait_loadcnt 0x4
	v_lshrrev_b32_e32 v104, 16, v17
	v_mul_f16_e32 v105, v101, v11
	v_lshrrev_b32_e32 v11, 16, v81
	v_fma_f16 v101, v101, v3, -v0
	v_lshrrev_b32_e32 v0, 16, v16
	v_lshrrev_b32_e32 v106, 16, v19
	v_mul_f16_e32 v107, v15, v104
	v_fmac_f16_e32 v99, v76, v1
	v_fmac_f16_e32 v105, v80, v3
	s_wait_dscnt 0x1
	v_lshrrev_b32_e32 v3, 16, v8
	v_mul_f16_e32 v76, v8, v0
	v_fmac_f16_e32 v102, v79, v2
	v_mul_f16_e32 v108, v11, v106
	v_fmac_f16_e32 v107, v77, v17
	v_mul_f16_e32 v1, v77, v104
	v_lshrrev_b32_e32 v2, 16, v18
	v_mul_f16_e32 v79, v81, v106
	v_fma_f16 v106, v3, v16, -v76
	ds_load_2addr_b32 v[76:77], v30 offset0:40 offset1:140
	v_fmac_f16_e32 v108, v81, v19
	s_wait_dscnt 0x1
	v_lshrrev_b32_e32 v80, 16, v82
	v_mul_f16_e32 v81, v82, v2
	v_mul_f16_e32 v104, v3, v0
	v_fma_f16 v109, v15, v17, -v1
	v_lshrrev_b32_e32 v0, 16, v9
	v_mul_f16_e32 v110, v80, v2
	v_fma_f16 v81, v80, v18, -v81
	s_wait_loadcnt 0x3
	v_lshrrev_b32_e32 v2, 16, v20
	v_lshrrev_b32_e32 v3, 16, v78
	;; [unrolled: 1-line block ×3, first 2 shown]
	v_fma_f16 v19, v11, v19, -v79
	ds_load_2addr_b32 v[79:80], v48 offset0:112 offset1:212
	v_fmac_f16_e32 v104, v8, v16
	v_mul_f16_e32 v1, v0, v2
	v_mul_f16_e32 v15, v3, v17
	v_lshrrev_b32_e32 v11, 16, v83
	v_lshrrev_b32_e32 v16, 16, v22
	v_mul_f16_e32 v2, v9, v2
	v_fmac_f16_e32 v1, v9, v20
	v_fmac_f16_e32 v15, v78, v21
	v_mul_f16_e32 v9, v78, v17
	v_mul_f16_e32 v8, v11, v16
	v_lshrrev_b32_e32 v17, 16, v23
	s_wait_dscnt 0x1
	v_lshrrev_b32_e32 v78, 16, v76
	v_fmac_f16_e32 v110, v82, v18
	v_mul_f16_e32 v82, v83, v16
	v_fmac_f16_e32 v8, v83, v22
	v_fma_f16 v2, v0, v20, -v2
	v_mul_f16_e32 v0, v76, v17
	v_mul_f16_e32 v18, v78, v17
	v_lshrrev_b32_e32 v20, 16, v77
	s_wait_loadcnt 0x2
	v_lshrrev_b32_e32 v83, 16, v70
	v_fma_f16 v16, v3, v21, -v9
	v_fma_f16 v17, v78, v23, -v0
	v_fmac_f16_e32 v18, v76, v23
	s_wait_loadcnt 0x1
	v_lshrrev_b32_e32 v0, 16, v69
	v_mul_f16_e32 v21, v20, v83
	s_wait_dscnt 0x0
	v_lshrrev_b32_e32 v9, 16, v79
	s_wait_loadcnt 0x0
	v_lshrrev_b32_e32 v23, 16, v71
	v_fma_f16 v3, v11, v22, -v82
	v_lshrrev_b32_e32 v22, 16, v80
	v_mul_f16_e32 v76, v77, v83
	v_fmac_f16_e32 v21, v77, v70
	v_mul_f16_e32 v77, v79, v0
	v_mul_f16_e32 v78, v9, v0
	;; [unrolled: 1-line block ×4, first 2 shown]
	v_fma_f16 v20, v20, v70, -v76
	v_fma_f16 v23, v9, v69, -v77
	v_sub_f16_e32 v77, v86, v21
	v_fma_f16 v9, v22, v71, -v0
	v_add_f16_e32 v0, v95, v103
	v_fmac_f16_e32 v11, v80, v71
	v_add_f16_e32 v71, v94, v102
	v_fmac_f16_e32 v78, v79, v69
	v_sub_f16_e32 v79, v20, v103
	v_fma_f16 v76, -0.5, v0, v84
	v_sub_f16_e32 v0, v92, v95
	v_fma_f16 v71, -0.5, v71, v89
	v_sub_f16_e32 v80, v92, v20
	v_sub_f16_e32 v83, v94, v102
	v_fmamk_f16 v82, v77, 0x3b9c, v76
	v_sub_f16_e32 v70, v86, v94
	v_sub_f16_e32 v111, v21, v102
	v_add_f16_e32 v79, v0, v79
	v_fmamk_f16 v0, v80, 0xbb9c, v71
	v_sub_f16_e32 v112, v95, v103
	v_fmac_f16_e32 v82, 0x38b4, v83
	v_sub_f16_e32 v22, v74, v90
	v_sub_f16_e32 v69, v105, v99
	;; [unrolled: 1-line block ×4, first 2 shown]
	v_add_f16_e32 v70, v70, v111
	v_fmac_f16_e32 v0, 0xb8b4, v112
	v_fmac_f16_e32 v82, 0x34f2, v79
	v_add_f16_e32 v22, v22, v69
	v_add_f16_e32 v69, v113, v114
	;; [unrolled: 1-line block ×3, first 2 shown]
	v_fmac_f16_e32 v0, 0x34f2, v70
	v_mul_f16_e32 v111, 0xb8b4, v82
	v_mul_f16_e32 v82, 0x3a79, v82
	v_lshrrev_b32_e32 v113, 16, v85
	v_add_f16_e32 v116, v90, v99
	v_add_f16_e32 v124, v74, v105
	v_fmac_f16_e32 v111, 0x3a79, v0
	v_fmac_f16_e32 v82, 0x38b4, v0
	v_add3_u32 v0, 0, v67, v68
	v_add_f16_e32 v68, v114, v90
	v_add_f16_e32 v115, v113, v88
	v_fma_f16 v116, -0.5, v116, v85
	v_sub_f16_e32 v121, v87, v100
	v_fmac_f16_e32 v85, -0.5, v124
	v_add_f16_e32 v68, v68, v99
	v_add_f16_e32 v114, v84, v92
	;; [unrolled: 1-line block ×4, first 2 shown]
	v_sub_f16_e32 v118, v88, v101
	v_sub_f16_e32 v119, v74, v105
	;; [unrolled: 1-line block ×3, first 2 shown]
	v_add_f16_e32 v68, v68, v105
	v_sub_f16_e32 v74, v90, v74
	v_sub_f16_e32 v90, v99, v105
	v_fmamk_f16 v105, v121, 0x3b9c, v85
	v_fmac_f16_e32 v85, 0xbb9c, v121
	v_sub_f16_e32 v87, v87, v88
	v_add_f16_e32 v88, v88, v101
	v_add_f16_e32 v67, v89, v86
	;; [unrolled: 1-line block ×3, first 2 shown]
	v_fma_f16 v117, -0.5, v117, v113
	v_add_f16_e32 v74, v74, v90
	v_fmac_f16_e32 v105, 0xb8b4, v118
	v_fmac_f16_e32 v85, 0x38b4, v118
	v_sub_f16_e32 v90, v100, v101
	v_fmac_f16_e32 v113, -0.5, v88
	v_add_f16_e32 v88, v92, v20
	v_add_f16_e32 v67, v67, v94
	;; [unrolled: 1-line block ×3, first 2 shown]
	v_fmac_f16_e32 v105, 0x34f2, v74
	v_fmac_f16_e32 v85, 0x34f2, v74
	v_add_f16_e32 v74, v87, v90
	v_sub_f16_e32 v87, v94, v86
	v_add_f16_e32 v86, v86, v21
	v_fmac_f16_e32 v84, -0.5, v88
	v_add_f16_e32 v67, v67, v102
	v_add_f16_e32 v114, v114, v20
	v_sub_f16_e32 v20, v103, v20
	v_fmac_f16_e32 v89, -0.5, v86
	v_sub_f16_e32 v86, v95, v92
	v_fmamk_f16 v88, v83, 0xbb9c, v84
	v_fmac_f16_e32 v84, 0x3b9c, v83
	v_fmac_f16_e32 v76, 0xbb9c, v77
	v_add_f16_e32 v67, v67, v21
	v_fmamk_f16 v90, v123, 0xbb9c, v113
	v_sub_f16_e32 v21, v102, v21
	v_fmac_f16_e32 v113, 0x3b9c, v123
	v_fmamk_f16 v92, v112, 0x3b9c, v89
	v_add_f16_e32 v20, v86, v20
	v_fmac_f16_e32 v88, 0x38b4, v77
	v_fmac_f16_e32 v89, 0xbb9c, v112
	;; [unrolled: 1-line block ×5, first 2 shown]
	v_fmamk_f16 v120, v118, 0xbb9c, v116
	v_fmamk_f16 v122, v119, 0x3b9c, v117
	v_fmac_f16_e32 v90, 0x38b4, v119
	v_fmac_f16_e32 v113, 0xb8b4, v119
	v_add_f16_e32 v21, v87, v21
	v_fmac_f16_e32 v92, 0xb8b4, v80
	v_fmac_f16_e32 v88, 0x34f2, v20
	;; [unrolled: 1-line block ×8, first 2 shown]
	v_add_f16_e32 v115, v115, v100
	v_fmac_f16_e32 v120, 0xb8b4, v121
	v_fmac_f16_e32 v122, 0x38b4, v123
	;; [unrolled: 1-line block ×5, first 2 shown]
	v_mul_f16_e32 v74, 0xbb9c, v88
	v_mul_f16_e32 v86, 0x34f2, v88
	v_fmac_f16_e32 v89, 0x34f2, v21
	v_mul_f16_e32 v20, 0xbb9c, v84
	v_mul_f16_e32 v21, 0xb4f2, v84
	v_fmac_f16_e32 v116, 0x38b4, v121
	v_fmac_f16_e32 v117, 0xb8b4, v123
	v_fmac_f16_e32 v71, 0x34f2, v70
	v_mul_f16_e32 v70, 0xb8b4, v76
	v_mul_f16_e32 v76, 0xba79, v76
	v_add_f16_e32 v115, v115, v101
	v_fmac_f16_e32 v120, 0x34f2, v22
	v_fmac_f16_e32 v122, 0x34f2, v69
	;; [unrolled: 1-line block ×10, first 2 shown]
	v_add_f16_e32 v125, v68, v67
	v_add_f16_e32 v126, v115, v114
	;; [unrolled: 1-line block ×8, first 2 shown]
	v_sub_f16_e32 v67, v68, v67
	v_add_f16_e32 v68, v116, v70
	v_add_f16_e32 v71, v117, v76
	v_sub_f16_e32 v80, v115, v114
	v_pack_b32_f16 v99, v125, v126
	v_pack_b32_f16 v124, v127, v124
	;; [unrolled: 1-line block ×6, first 2 shown]
	global_wb scope:SCOPE_SE
	s_barrier_signal -1
	s_barrier_wait -1
	global_inv scope:SCOPE_SE
	ds_store_2addr_b32 v0, v99, v124 offset1:30
	ds_store_2addr_b32 v0, v77, v22 offset0:60 offset1:90
	ds_store_2addr_b32 v0, v68, v67 offset0:120 offset1:150
	v_sub_f16_e32 v67, v105, v74
	v_add_f16_e32 v68, v93, v107
	v_sub_f16_e32 v71, v96, v93
	v_sub_f16_e32 v74, v108, v107
	;; [unrolled: 1-line block ×4, first 2 shown]
	v_fma_f16 v68, -0.5, v68, v75
	v_sub_f16_e32 v70, v122, v82
	v_add_f16_e32 v71, v71, v74
	v_add_f16_e32 v74, v96, v108
	v_sub_f16_e32 v82, v91, v109
	v_fmamk_f16 v80, v77, 0xbb9c, v68
	v_lshrrev_b32_e32 v83, 16, v75
	v_add_f16_e32 v84, v75, v96
	v_fmac_f16_e32 v75, -0.5, v74
	v_fmac_f16_e32 v68, 0x3b9c, v77
	v_sub_f16_e32 v20, v85, v20
	v_sub_f16_e32 v79, v90, v86
	v_fmac_f16_e32 v80, 0xb8b4, v82
	v_sub_f16_e32 v74, v93, v96
	v_sub_f16_e32 v85, v107, v108
	v_fmamk_f16 v86, v82, 0x3b9c, v75
	v_fmac_f16_e32 v75, 0xbb9c, v82
	v_fmac_f16_e32 v68, 0x38b4, v82
	v_add_f16_e32 v82, v84, v93
	v_add_f16_e32 v74, v74, v85
	v_fmac_f16_e32 v86, 0xb8b4, v77
	v_fmac_f16_e32 v75, 0x38b4, v77
	;; [unrolled: 1-line block ×3, first 2 shown]
	v_add_f16_e32 v77, v82, v107
	v_fmac_f16_e32 v68, 0x34f2, v71
	v_fmac_f16_e32 v86, 0x34f2, v74
	;; [unrolled: 1-line block ×3, first 2 shown]
	v_add_f16_e32 v74, v83, v97
	v_add_f16_e32 v71, v77, v108
	;; [unrolled: 1-line block ×3, first 2 shown]
	v_sub_f16_e32 v82, v96, v108
	v_sub_f16_e32 v84, v97, v91
	;; [unrolled: 1-line block ×3, first 2 shown]
	v_add_f16_e32 v74, v74, v91
	v_fma_f16 v77, -0.5, v77, v83
	v_add_f16_e32 v88, v97, v19
	v_sub_f16_e32 v87, v93, v107
	v_add_f16_e32 v84, v84, v85
	v_add_f16_e32 v74, v74, v109
	v_fmamk_f16 v85, v82, 0x3b9c, v77
	v_fmac_f16_e32 v77, 0xbb9c, v82
	v_fmac_f16_e32 v83, -0.5, v88
	v_sub_f16_e32 v88, v91, v97
	v_add_f16_e32 v74, v74, v19
	v_fmac_f16_e32 v85, 0x38b4, v87
	v_fmac_f16_e32 v77, 0xb8b4, v87
	v_sub_f16_e32 v19, v109, v19
	v_fmamk_f16 v89, v87, 0xbb9c, v83
	v_fmac_f16_e32 v83, 0x3b9c, v87
	v_fmac_f16_e32 v85, 0x34f2, v84
	;; [unrolled: 1-line block ×3, first 2 shown]
	v_add_f16_e32 v84, v104, v110
	v_add_f16_e32 v19, v88, v19
	v_fmac_f16_e32 v89, 0x38b4, v82
	v_sub_f16_e32 v87, v98, v104
	v_sub_f16_e32 v88, v78, v110
	v_fmac_f16_e32 v83, 0xb8b4, v82
	v_add_f16_e32 v82, v98, v78
	v_fma_f16 v84, -0.5, v84, v38
	v_sub_f16_e32 v92, v106, v81
	v_add_f16_e32 v87, v87, v88
	v_add_f16_e32 v88, v38, v98
	v_fmac_f16_e32 v38, -0.5, v82
	v_sub_f16_e32 v90, v73, v23
	v_sub_f16_e32 v82, v104, v98
	;; [unrolled: 1-line block ×3, first 2 shown]
	v_add_f16_e32 v88, v88, v104
	v_fmamk_f16 v94, v92, 0x3b9c, v38
	v_fmac_f16_e32 v38, 0xbb9c, v92
	v_fmamk_f16 v91, v90, 0xbb9c, v84
	v_fmac_f16_e32 v84, 0x3b9c, v90
	v_add_f16_e32 v82, v82, v93
	v_fmac_f16_e32 v94, 0xb8b4, v90
	v_fmac_f16_e32 v38, 0x38b4, v90
	;; [unrolled: 1-line block ×6, first 2 shown]
	v_add_f16_e32 v19, v88, v110
	v_fmac_f16_e32 v94, 0x34f2, v82
	v_fmac_f16_e32 v38, 0x34f2, v82
	v_add_f16_e32 v82, v106, v81
	v_add_f16_e32 v90, v73, v23
	v_fmac_f16_e32 v91, 0x34f2, v87
	v_fmac_f16_e32 v84, 0x34f2, v87
	v_add_f16_e32 v19, v19, v78
	v_sub_f16_e32 v78, v98, v78
	v_sub_f16_e32 v87, v73, v106
	;; [unrolled: 1-line block ×3, first 2 shown]
	v_add_f16_e32 v92, v39, v73
	v_fma_f16 v82, -0.5, v82, v39
	v_sub_f16_e32 v93, v104, v110
	v_fmac_f16_e32 v39, -0.5, v90
	v_add_f16_e32 v87, v87, v88
	v_add_f16_e32 v88, v92, v106
	v_fmamk_f16 v90, v78, 0x3b9c, v82
	v_sub_f16_e32 v73, v106, v73
	v_sub_f16_e32 v92, v81, v23
	v_fmamk_f16 v95, v93, 0xbb9c, v39
	v_fmac_f16_e32 v82, 0xbb9c, v78
	v_fmac_f16_e32 v39, 0x3b9c, v93
	;; [unrolled: 1-line block ×3, first 2 shown]
	v_add_f16_e32 v73, v73, v92
	v_fmac_f16_e32 v95, 0x38b4, v78
	v_fmac_f16_e32 v82, 0xb8b4, v93
	;; [unrolled: 1-line block ×3, first 2 shown]
	v_add_f16_e32 v81, v88, v81
	v_fmac_f16_e32 v90, 0x34f2, v87
	v_fmac_f16_e32 v95, 0x34f2, v73
	;; [unrolled: 1-line block ×4, first 2 shown]
	v_add_f16_e32 v23, v81, v23
	v_mul_f16_e32 v78, 0xb8b4, v90
	v_mul_f16_e32 v81, 0x3a79, v90
	v_mul_f16_e32 v87, 0xbb9c, v95
	v_mul_f16_e32 v73, 0x34f2, v95
	v_mul_f16_e32 v88, 0xbb9c, v39
	v_mul_f16_e32 v90, 0xb8b4, v82
	v_fmac_f16_e32 v78, 0x3a79, v91
	v_fmac_f16_e32 v81, 0x38b4, v91
	;; [unrolled: 1-line block ×3, first 2 shown]
	v_mul_f16_e32 v39, 0xb4f2, v39
	v_mul_f16_e32 v82, 0xba79, v82
	v_fmac_f16_e32 v73, 0x3b9c, v94
	v_fmac_f16_e32 v88, 0xb4f2, v38
	;; [unrolled: 1-line block ×5, first 2 shown]
	v_add_f16_e32 v38, v71, v19
	v_sub_f16_e32 v19, v71, v19
	v_add_f16_e32 v71, v80, v78
	v_sub_f16_e32 v78, v80, v78
	;; [unrolled: 2-line block ×9, first 2 shown]
	v_sub_f16_e32 v91, v18, v15
	v_add_f16_e32 v92, v83, v39
	v_sub_f16_e32 v39, v83, v39
	v_fma_f16 v83, -0.5, v89, v72
	v_sub_f16_e32 v89, v13, v17
	v_add_f16_e32 v90, v90, v91
	v_add_f16_e32 v91, v12, v18
	v_lshrrev_b32_e32 v93, 16, v72
	v_add_f16_e32 v94, v72, v12
	v_fmamk_f16 v95, v89, 0xbb9c, v83
	v_sub_f16_e32 v96, v10, v16
	v_fmac_f16_e32 v72, -0.5, v91
	v_fmac_f16_e32 v83, 0x3b9c, v89
	v_sub_f16_e32 v91, v14, v12
	v_sub_f16_e32 v97, v15, v18
	v_fmac_f16_e32 v95, 0xb8b4, v96
	v_fmamk_f16 v98, v96, 0x3b9c, v72
	v_fmac_f16_e32 v72, 0xbb9c, v96
	v_fmac_f16_e32 v83, 0x38b4, v96
	v_add_f16_e32 v91, v91, v97
	v_add_f16_e32 v94, v94, v14
	v_fmac_f16_e32 v98, 0xb8b4, v89
	v_fmac_f16_e32 v72, 0x38b4, v89
	;; [unrolled: 1-line block ×4, first 2 shown]
	v_add_f16_e32 v90, v93, v13
	v_add_f16_e32 v89, v77, v82
	v_sub_f16_e32 v77, v77, v82
	v_add_f16_e32 v82, v94, v15
	v_fmac_f16_e32 v98, 0x34f2, v91
	v_fmac_f16_e32 v72, 0x34f2, v91
	v_add_f16_e32 v91, v10, v16
	v_add_f16_e32 v90, v90, v10
	v_sub_f16_e32 v14, v14, v15
	v_add_f16_e32 v15, v13, v17
	v_add_f16_e32 v82, v82, v18
	v_sub_f16_e32 v12, v12, v18
	v_sub_f16_e32 v18, v13, v10
	;; [unrolled: 1-line block ×3, first 2 shown]
	v_fma_f16 v91, -0.5, v91, v93
	v_add_f16_e32 v90, v90, v16
	v_fmac_f16_e32 v93, -0.5, v15
	v_sub_f16_e32 v10, v10, v13
	v_sub_f16_e32 v15, v16, v17
	v_add_f16_e32 v18, v18, v94
	v_fmamk_f16 v94, v12, 0x3b9c, v91
	v_fmac_f16_e32 v91, 0xbb9c, v12
	v_add_f16_e32 v13, v90, v17
	v_fmamk_f16 v16, v14, 0xbb9c, v93
	v_fmac_f16_e32 v93, 0x3b9c, v14
	v_add_f16_e32 v10, v10, v15
	v_sub_f16_e32 v15, v7, v1
	v_sub_f16_e32 v17, v11, v8
	v_fmac_f16_e32 v94, 0x38b4, v14
	v_fmac_f16_e32 v91, 0xb8b4, v14
	v_add_f16_e32 v14, v1, v8
	v_fmac_f16_e32 v16, 0x38b4, v12
	v_fmac_f16_e32 v93, 0xb8b4, v12
	v_add_f16_e32 v12, v7, v11
	v_add_f16_e32 v15, v15, v17
	;; [unrolled: 1-line block ×3, first 2 shown]
	v_fmac_f16_e32 v94, 0x34f2, v18
	v_fmac_f16_e32 v91, 0x34f2, v18
	v_fma_f16 v14, -0.5, v14, v4
	v_sub_f16_e32 v18, v6, v9
	v_sub_f16_e32 v96, v2, v3
	v_fmac_f16_e32 v4, -0.5, v12
	v_add_f16_e32 v17, v17, v1
	v_sub_f16_e32 v12, v1, v7
	v_fmamk_f16 v90, v18, 0xbb9c, v14
	v_fmac_f16_e32 v14, 0x3b9c, v18
	v_sub_f16_e32 v97, v8, v11
	v_fmamk_f16 v99, v96, 0x3b9c, v4
	v_fmac_f16_e32 v4, 0xbb9c, v96
	v_fmac_f16_e32 v16, 0x34f2, v10
	;; [unrolled: 1-line block ×3, first 2 shown]
	v_add_f16_e32 v10, v17, v8
	v_fmac_f16_e32 v90, 0xb8b4, v96
	v_fmac_f16_e32 v14, 0x38b4, v96
	v_add_f16_e32 v12, v12, v97
	v_fmac_f16_e32 v99, 0xb8b4, v18
	v_fmac_f16_e32 v4, 0x38b4, v18
	v_add_f16_e32 v10, v10, v11
	v_sub_f16_e32 v7, v7, v11
	v_add_f16_e32 v11, v2, v3
	v_add_f16_e32 v17, v6, v9
	v_fmac_f16_e32 v90, 0x34f2, v15
	v_fmac_f16_e32 v14, 0x34f2, v15
	;; [unrolled: 1-line block ×4, first 2 shown]
	v_sub_f16_e32 v12, v6, v2
	v_sub_f16_e32 v15, v9, v3
	v_add_f16_e32 v18, v5, v6
	v_fma_f16 v11, -0.5, v11, v5
	v_sub_f16_e32 v1, v1, v8
	v_fmac_f16_e32 v5, -0.5, v17
	v_add_f16_e32 v8, v12, v15
	v_add_f16_e32 v12, v18, v2
	v_sub_f16_e32 v2, v2, v6
	v_sub_f16_e32 v6, v3, v9
	v_fmamk_f16 v17, v1, 0xbb9c, v5
	v_fmac_f16_e32 v5, 0x3b9c, v1
	v_fmamk_f16 v15, v7, 0x3b9c, v11
	v_fmac_f16_e32 v11, 0xbb9c, v7
	v_add_f16_e32 v2, v2, v6
	v_fmac_f16_e32 v17, 0x38b4, v7
	v_fmac_f16_e32 v5, 0xb8b4, v7
	;; [unrolled: 1-line block ×4, first 2 shown]
	v_add_f16_e32 v3, v12, v3
	v_fmac_f16_e32 v17, 0x34f2, v2
	v_fmac_f16_e32 v5, 0x34f2, v2
	;; [unrolled: 1-line block ×4, first 2 shown]
	v_sub_f16_e32 v22, v120, v111
	v_mul_f16_e32 v2, 0x34f2, v17
	v_mul_f16_e32 v8, 0xbb9c, v5
	;; [unrolled: 1-line block ×3, first 2 shown]
	v_sub_f16_e32 v21, v113, v21
	v_sub_f16_e32 v76, v117, v76
	v_mul_f16_e32 v1, 0xb8b4, v15
	v_mul_f16_e32 v6, 0x3a79, v15
	;; [unrolled: 1-line block ×3, first 2 shown]
	v_fmac_f16_e32 v2, 0x3b9c, v99
	v_fmac_f16_e32 v8, 0xb4f2, v4
	;; [unrolled: 1-line block ×3, first 2 shown]
	v_add_f16_e32 v3, v3, v9
	v_mul_f16_e32 v9, 0xb8b4, v11
	v_mul_f16_e32 v11, 0xba79, v11
	v_pack_b32_f16 v22, v22, v70
	v_pack_b32_f16 v67, v67, v79
	v_fmac_f16_e32 v1, 0x3a79, v90
	v_fmac_f16_e32 v6, 0x38b4, v90
	v_pack_b32_f16 v20, v20, v21
	v_pack_b32_f16 v21, v69, v76
	v_add_nc_u32_e32 v64, 0x200, v0
	v_fmac_f16_e32 v7, 0x34f2, v99
	v_add_f16_e32 v15, v72, v8
	v_sub_f16_e32 v8, v72, v8
	v_add_f16_e32 v72, v16, v2
	v_sub_f16_e32 v2, v16, v2
	v_add_f16_e32 v16, v93, v5
	v_sub_f16_e32 v5, v93, v5
	v_pack_b32_f16 v38, v38, v88
	v_pack_b32_f16 v69, v71, v74
	v_fmac_f16_e32 v9, 0xba79, v14
	v_fmac_f16_e32 v11, 0x38b4, v14
	ds_store_2addr_b32 v0, v22, v67 offset0:180 offset1:210
	ds_store_2addr_b32 v64, v20, v21 offset0:112 offset1:142
	ds_store_2addr_b32 v63, v38, v69 offset1:30
	v_pack_b32_f16 v19, v19, v23
	v_mul_u32_u24_e32 v23, 0x4b0, v65
	v_lshlrev_b32_e32 v38, 2, v66
	v_add_f16_e32 v4, v82, v10
	v_add_f16_e32 v12, v95, v1
	;; [unrolled: 1-line block ×3, first 2 shown]
	v_sub_f16_e32 v3, v13, v3
	v_add_f16_e32 v13, v94, v6
	v_add_f16_e32 v14, v98, v7
	v_pack_b32_f16 v0, v80, v85
	v_pack_b32_f16 v20, v86, v92
	;; [unrolled: 1-line block ×3, first 2 shown]
	v_mul_u32_u24_e32 v8, 9, v24
	v_sub_f16_e32 v10, v82, v10
	v_add_f16_e32 v17, v83, v9
	v_add_f16_e32 v70, v91, v11
	v_pack_b32_f16 v21, v87, v89
	v_sub_f16_e32 v1, v95, v1
	v_sub_f16_e32 v7, v98, v7
	;; [unrolled: 1-line block ×5, first 2 shown]
	v_pack_b32_f16 v22, v78, v81
	v_pack_b32_f16 v64, v84, v73
	;; [unrolled: 1-line block ×4, first 2 shown]
	v_add_nc_u32_e32 v66, 0x200, v63
	v_add3_u32 v23, 0, v23, v38
	v_pack_b32_f16 v4, v4, v18
	v_pack_b32_f16 v12, v12, v13
	ds_store_2addr_b32 v63, v0, v20 offset0:60 offset1:90
	ds_store_2addr_b32 v63, v21, v19 offset0:120 offset1:150
	;; [unrolled: 1-line block ×4, first 2 shown]
	ds_store_2addr_b32 v23, v4, v12 offset1:30
	v_pack_b32_f16 v0, v14, v72
	v_pack_b32_f16 v4, v15, v16
	v_lshlrev_b32_e32 v14, 2, v8
	v_pack_b32_f16 v12, v17, v70
	v_pack_b32_f16 v3, v10, v3
	;; [unrolled: 1-line block ×5, first 2 shown]
	v_mul_i32_i24_e32 v8, 9, v29
	v_mov_b32_e32 v9, 0
	v_add_nc_u32_e32 v7, 0x200, v23
	ds_store_2addr_b32 v23, v0, v4 offset0:60 offset1:90
	ds_store_2addr_b32 v23, v12, v3 offset0:120 offset1:150
	ds_store_2addr_b32 v23, v1, v2 offset0:180 offset1:210
	ds_store_2addr_b32 v7, v5, v6 offset0:112 offset1:142
	global_wb scope:SCOPE_SE
	s_wait_dscnt 0x0
	s_barrier_signal -1
	s_barrier_wait -1
	global_inv scope:SCOPE_SE
	global_load_b128 v[0:3], v14, s[4:5] offset:1160
	v_lshlrev_b64_e32 v[4:5], 2, v[8:9]
	v_mul_i32_i24_e32 v8, 9, v37
	s_delay_alu instid0(VALU_DEP_2) | instskip(SKIP_1) | instid1(VALU_DEP_3)
	v_add_co_u32 v10, s0, s4, v4
	s_wait_alu 0xf1ff
	v_add_co_ci_u32_e64 v11, s0, s5, v5, s0
	s_delay_alu instid0(VALU_DEP_3)
	v_lshlrev_b64_e32 v[12:13], 2, v[8:9]
	global_load_b128 v[4:7], v[10:11], off offset:1160
	v_add_co_u32 v12, s0, s4, v12
	s_wait_alu 0xf1ff
	v_add_co_ci_u32_e64 v13, s0, s5, v13, s0
	s_clause 0x6
	global_load_b128 v[16:19], v[12:13], off offset:1160
	global_load_b128 v[68:71], v14, s[4:5] offset:1176
	global_load_b128 v[84:87], v[10:11], off offset:1176
	global_load_b128 v[88:91], v[12:13], off offset:1176
	global_load_b32 v23, v14, s[4:5] offset:1192
	global_load_b32 v65, v[10:11], off offset:1192
	global_load_b32 v66, v[12:13], off offset:1192
	ds_load_2addr_b32 v[11:12], v59 offset0:48 offset1:148
	ds_load_b32 v15, v44
	ds_load_2addr_b32 v[13:14], v55 offset0:144 offset1:244
	ds_load_2addr_b32 v[38:39], v62 offset0:60 offset1:160
	;; [unrolled: 1-line block ×3, first 2 shown]
	ds_load_b32 v20, v46
	ds_load_b32 v22, v53
	ds_load_2addr_b32 v[62:63], v54 offset0:120 offset1:220
	ds_load_b32 v10, v61
	ds_load_b32 v8, v60
	;; [unrolled: 1-line block ×3, first 2 shown]
	s_wait_dscnt 0xa
	v_lshrrev_b32_e32 v21, 16, v11
	s_wait_dscnt 0x9
	v_lshrrev_b32_e32 v64, 16, v15
	;; [unrolled: 2-line block ×4, first 2 shown]
	v_lshrrev_b32_e32 v72, 16, v38
	v_lshrrev_b32_e32 v76, 16, v20
	;; [unrolled: 1-line block ×5, first 2 shown]
	s_wait_loadcnt 0x8
	v_lshrrev_b32_e32 v54, 16, v0
	v_lshrrev_b32_e32 v75, 16, v1
	;; [unrolled: 1-line block ×4, first 2 shown]
	s_delay_alu instid0(VALU_DEP_4) | instskip(NEXT) | instid1(VALU_DEP_3)
	v_mul_f16_e32 v92, v54, v64
	v_mul_f16_e32 v95, v77, v79
	s_delay_alu instid0(VALU_DEP_3) | instskip(NEXT) | instid1(VALU_DEP_3)
	v_mul_f16_e32 v96, v21, v80
	v_fmac_f16_e32 v92, v0, v15
	v_mul_f16_e32 v15, v54, v15
	v_mul_f16_e32 v54, v75, v76
	;; [unrolled: 1-line block ×3, first 2 shown]
	v_fmac_f16_e32 v95, v2, v22
	v_fmac_f16_e32 v96, v11, v3
	v_fma_f16 v93, v0, v64, -v15
	v_fmac_f16_e32 v54, v1, v20
	v_fma_f16 v94, v1, v76, -v75
	v_mul_f16_e32 v0, v77, v22
	v_mul_f16_e32 v1, v11, v80
	s_wait_loadcnt 0x7
	v_lshrrev_b32_e32 v15, 16, v4
	v_lshrrev_b32_e32 v20, 16, v56
	s_wait_loadcnt 0x6
	v_lshrrev_b32_e32 v11, 16, v18
	v_fma_f16 v97, v2, v79, -v0
	v_fma_f16 v98, v21, v3, -v1
	v_mul_f16_e32 v0, v13, v15
	v_lshrrev_b32_e32 v1, 16, v5
	v_lshrrev_b32_e32 v2, 16, v6
	;; [unrolled: 1-line block ×3, first 2 shown]
	v_mul_f16_e32 v21, v67, v15
	v_fma_f16 v22, v67, v4, -v0
	v_mul_f16_e32 v0, v38, v1
	v_mul_f16_e32 v79, v72, v1
	v_mul_f16_e32 v1, v55, v2
	v_mul_f16_e32 v77, v74, v3
	v_mul_f16_e32 v3, v12, v3
	v_mul_f16_e32 v67, v73, v2
	v_lshrrev_b32_e32 v2, 16, v39
	v_fma_f16 v64, v73, v6, -v1
	v_lshrrev_b32_e32 v1, 16, v16
	v_fma_f16 v76, v74, v7, -v3
	;; [unrolled: 2-line block ×3, first 2 shown]
	v_fmac_f16_e32 v77, v12, v7
	v_fmac_f16_e32 v21, v13, v4
	;; [unrolled: 1-line block ×4, first 2 shown]
	v_mul_f16_e32 v0, v78, v1
	ds_load_2addr_b32 v[4:5], v58 offset0:8 offset1:108
	v_mul_f16_e32 v15, v2, v3
	v_mul_f16_e32 v12, v39, v3
	ds_load_2addr_b32 v[6:7], v52 offset0:80 offset1:180
	v_mul_f16_e32 v1, v14, v1
	v_fmac_f16_e32 v0, v14, v16
	v_fmac_f16_e32 v15, v39, v17
	v_lshrrev_b32_e32 v14, 16, v19
	v_fma_f16 v13, v2, v17, -v12
	s_wait_dscnt 0x5
	v_lshrrev_b32_e32 v17, 16, v62
	v_fma_f16 v1, v78, v16, -v1
	v_mul_f16_e32 v3, v20, v11
	v_mul_f16_e32 v2, v56, v11
	;; [unrolled: 1-line block ×4, first 2 shown]
	s_wait_loadcnt 0x5
	v_lshrrev_b32_e32 v52, 16, v68
	ds_load_2addr_b32 v[11:12], v57 offset0:96 offset1:196
	v_lshrrev_b32_e32 v39, 16, v63
	v_fma_f16 v2, v20, v18, -v2
	v_fma_f16 v14, v17, v19, -v38
	v_fmac_f16_e32 v16, v62, v19
	v_lshrrev_b32_e32 v17, 16, v69
	v_mul_f16_e32 v19, v63, v52
	v_lshrrev_b32_e32 v20, 16, v70
	v_fmac_f16_e32 v3, v56, v18
	v_mul_f16_e32 v55, v39, v52
	s_wait_dscnt 0x2
	v_lshrrev_b32_e32 v18, 16, v4
	v_mul_f16_e32 v38, v4, v17
	s_wait_dscnt 0x1
	v_lshrrev_b32_e32 v52, 16, v7
	v_fma_f16 v56, v39, v68, -v19
	v_mul_f16_e32 v19, v7, v20
	v_mul_f16_e32 v57, v18, v17
	v_fma_f16 v58, v18, v69, -v38
	v_mul_f16_e32 v62, v52, v20
	ds_load_2addr_b32 v[38:39], v50 offset0:152 offset1:252
	v_fma_f16 v52, v52, v70, -v19
	ds_load_2addr_b32 v[18:19], v51 offset0:64 offset1:164
	v_lshrrev_b32_e32 v17, 16, v71
	s_wait_dscnt 0x2
	v_lshrrev_b32_e32 v20, 16, v11
	v_fmac_f16_e32 v55, v63, v68
	v_lshrrev_b32_e32 v50, 16, v5
	s_wait_loadcnt 0x4
	v_lshrrev_b32_e32 v63, 16, v85
	v_mul_f16_e32 v51, v11, v17
	v_mul_f16_e32 v68, v20, v17
	v_lshrrev_b32_e32 v17, 16, v12
	v_lshrrev_b32_e32 v72, 16, v87
	v_mul_f16_e32 v80, v50, v63
	v_fmac_f16_e32 v57, v4, v69
	v_fmac_f16_e32 v62, v7, v70
	v_lshrrev_b32_e32 v4, 16, v84
	v_mul_f16_e32 v83, v17, v72
	v_lshrrev_b32_e32 v7, 16, v86
	v_fma_f16 v99, v20, v71, -v51
	v_fmac_f16_e32 v68, v11, v71
	v_fmac_f16_e32 v80, v5, v85
	v_mul_f16_e32 v5, v5, v63
	v_fmac_f16_e32 v83, v12, v87
	s_wait_dscnt 0x0
	v_lshrrev_b32_e32 v11, 16, v18
	v_mul_f16_e32 v20, v18, v4
	v_mul_f16_e32 v51, v12, v72
	v_lshrrev_b32_e32 v12, 16, v38
	v_mul_f16_e32 v63, v38, v7
	v_mul_f16_e32 v72, v11, v4
	v_fma_f16 v71, v11, v84, -v20
	v_fma_f16 v81, v50, v85, -v5
	v_mul_f16_e32 v73, v12, v7
	v_fma_f16 v70, v12, v86, -v63
	ds_load_2addr_b32 v[11:12], v30 offset0:40 offset1:140
	v_lshrrev_b32_e32 v5, 16, v19
	s_wait_loadcnt 0x3
	v_lshrrev_b32_e32 v20, 16, v88
	v_fma_f16 v82, v17, v87, -v51
	v_lshrrev_b32_e32 v17, 16, v6
	v_lshrrev_b32_e32 v30, 16, v89
	ds_load_2addr_b32 v[50:51], v48 offset0:112 offset1:212
	v_fmac_f16_e32 v72, v18, v84
	v_mul_f16_e32 v4, v5, v20
	v_lshrrev_b32_e32 v63, 16, v39
	v_lshrrev_b32_e32 v69, 16, v90
	v_mul_f16_e32 v18, v17, v30
	v_fmac_f16_e32 v73, v38, v86
	v_fmac_f16_e32 v4, v19, v88
	v_mul_f16_e32 v19, v19, v20
	v_mul_f16_e32 v7, v63, v69
	v_fmac_f16_e32 v18, v6, v89
	v_mul_f16_e32 v6, v6, v30
	v_lshrrev_b32_e32 v30, 16, v91
	v_mul_f16_e32 v20, v39, v69
	v_fmac_f16_e32 v7, v39, v90
	v_fma_f16 v5, v5, v88, -v19
	s_wait_dscnt 0x1
	v_lshrrev_b32_e32 v19, 16, v11
	v_lshrrev_b32_e32 v38, 16, v12
	s_wait_loadcnt 0x2
	v_lshrrev_b32_e32 v39, 16, v23
	v_mul_f16_e32 v48, v11, v30
	v_fma_f16 v17, v17, v89, -v6
	v_fma_f16 v6, v63, v90, -v20
	v_mul_f16_e32 v20, v19, v30
	v_mul_f16_e32 v30, v38, v39
	v_fma_f16 v19, v19, v91, -v48
	s_wait_loadcnt 0x1
	v_lshrrev_b32_e32 v48, 16, v65
	s_wait_dscnt 0x0
	v_lshrrev_b32_e32 v63, 16, v50
	v_fmac_f16_e32 v20, v11, v91
	v_fmac_f16_e32 v30, v12, v23
	v_mul_f16_e32 v11, v12, v39
	v_mul_f16_e32 v12, v50, v48
	;; [unrolled: 1-line block ×3, first 2 shown]
	s_wait_loadcnt 0x0
	v_lshrrev_b32_e32 v48, 16, v66
	v_lshrrev_b32_e32 v39, 16, v51
	v_fma_f16 v23, v38, v23, -v11
	v_add_f16_e32 v11, v96, v57
	v_fma_f16 v74, v63, v65, -v12
	v_mul_f16_e32 v38, v51, v48
	v_fmac_f16_e32 v78, v50, v65
	v_mul_f16_e32 v12, v39, v48
	v_sub_f16_e32 v48, v54, v96
	v_sub_f16_e32 v50, v68, v57
	v_fma_f16 v63, -0.5, v11, v59
	v_fma_f16 v11, v39, v66, -v38
	v_add_f16_e32 v39, v54, v68
	v_sub_f16_e32 v65, v94, v99
	v_fmac_f16_e32 v12, v51, v66
	v_add_f16_e32 v38, v48, v50
	v_sub_f16_e32 v50, v98, v58
	v_lshrrev_b32_e32 v69, 16, v59
	v_add_f16_e32 v51, v59, v54
	v_fmac_f16_e32 v59, -0.5, v39
	v_fmamk_f16 v48, v65, 0xbb9c, v63
	v_fmac_f16_e32 v63, 0x3b9c, v65
	v_sub_f16_e32 v39, v96, v54
	v_sub_f16_e32 v66, v57, v68
	v_fmamk_f16 v84, v50, 0x3b9c, v59
	v_fmac_f16_e32 v59, 0xbb9c, v50
	v_add_f16_e32 v51, v51, v96
	v_fmac_f16_e32 v48, 0xb8b4, v50
	v_fmac_f16_e32 v63, 0x38b4, v50
	v_add_f16_e32 v39, v39, v66
	v_fmac_f16_e32 v84, 0xb8b4, v65
	;; [unrolled: 3-line block ×3, first 2 shown]
	v_fmac_f16_e32 v63, 0x34f2, v38
	v_fmac_f16_e32 v84, 0x34f2, v39
	;; [unrolled: 1-line block ×3, first 2 shown]
	v_add_f16_e32 v38, v50, v68
	v_add_f16_e32 v39, v69, v94
	;; [unrolled: 1-line block ×3, first 2 shown]
	v_sub_f16_e32 v51, v54, v68
	v_sub_f16_e32 v54, v94, v98
	v_sub_f16_e32 v65, v99, v58
	v_add_f16_e32 v39, v39, v98
	v_fma_f16 v68, -0.5, v50, v69
	v_sub_f16_e32 v50, v96, v57
	v_add_f16_e32 v57, v94, v99
	v_add_f16_e32 v54, v54, v65
	;; [unrolled: 1-line block ×3, first 2 shown]
	v_fmamk_f16 v65, v51, 0x3b9c, v68
	v_fmac_f16_e32 v68, 0xbb9c, v51
	v_fmac_f16_e32 v69, -0.5, v57
	v_sub_f16_e32 v57, v98, v94
	v_add_f16_e32 v66, v39, v99
	v_fmac_f16_e32 v65, 0x38b4, v50
	v_fmac_f16_e32 v68, 0xb8b4, v50
	v_sub_f16_e32 v39, v58, v99
	v_fmamk_f16 v85, v50, 0xbb9c, v69
	v_fmac_f16_e32 v69, 0x3b9c, v50
	v_fmac_f16_e32 v65, 0x34f2, v54
	;; [unrolled: 1-line block ×3, first 2 shown]
	v_add_f16_e32 v50, v55, v62
	v_add_f16_e32 v39, v57, v39
	v_fmac_f16_e32 v85, 0x38b4, v51
	v_sub_f16_e32 v54, v95, v55
	v_sub_f16_e32 v57, v30, v62
	v_fmac_f16_e32 v69, 0xb8b4, v51
	v_add_f16_e32 v51, v95, v30
	v_fma_f16 v50, -0.5, v50, v92
	v_sub_f16_e32 v87, v56, v52
	v_add_f16_e32 v54, v54, v57
	v_add_f16_e32 v57, v92, v95
	v_fmac_f16_e32 v92, -0.5, v51
	v_sub_f16_e32 v58, v97, v23
	v_sub_f16_e32 v51, v55, v95
	;; [unrolled: 1-line block ×3, first 2 shown]
	v_add_f16_e32 v57, v57, v55
	v_fmamk_f16 v89, v87, 0x3b9c, v92
	v_fmac_f16_e32 v92, 0xbb9c, v87
	v_fmamk_f16 v86, v58, 0xbb9c, v50
	v_add_f16_e32 v51, v51, v88
	v_fmac_f16_e32 v50, 0x3b9c, v58
	v_fmac_f16_e32 v89, 0xb8b4, v58
	;; [unrolled: 1-line block ×5, first 2 shown]
	v_add_f16_e32 v39, v57, v62
	v_fmac_f16_e32 v89, 0x34f2, v51
	v_fmac_f16_e32 v92, 0x34f2, v51
	v_add_f16_e32 v51, v56, v52
	v_fmac_f16_e32 v86, 0xb8b4, v87
	v_fmac_f16_e32 v50, 0x38b4, v87
	v_add_f16_e32 v39, v39, v30
	v_sub_f16_e32 v30, v95, v30
	v_add_f16_e32 v58, v97, v23
	v_fma_f16 v51, -0.5, v51, v93
	v_fmac_f16_e32 v86, 0x34f2, v54
	v_fmac_f16_e32 v50, 0x34f2, v54
	v_sub_f16_e32 v54, v97, v56
	v_sub_f16_e32 v57, v23, v52
	v_add_f16_e32 v87, v93, v97
	v_sub_f16_e32 v55, v55, v62
	v_fmac_f16_e32 v93, -0.5, v58
	v_fmamk_f16 v58, v30, 0x3b9c, v51
	v_add_f16_e32 v54, v54, v57
	v_add_f16_e32 v57, v87, v56
	v_sub_f16_e32 v56, v56, v97
	v_sub_f16_e32 v62, v52, v23
	v_fmamk_f16 v87, v55, 0xbb9c, v93
	v_fmac_f16_e32 v58, 0x38b4, v55
	v_fmac_f16_e32 v51, 0xbb9c, v30
	;; [unrolled: 1-line block ×3, first 2 shown]
	v_add_f16_e32 v56, v56, v62
	v_fmac_f16_e32 v87, 0x38b4, v30
	v_fmac_f16_e32 v58, 0x34f2, v54
	;; [unrolled: 1-line block ×4, first 2 shown]
	v_add_f16_e32 v52, v57, v52
	v_fmac_f16_e32 v87, 0x34f2, v56
	v_mul_f16_e32 v30, 0xb8b4, v58
	v_mul_f16_e32 v55, 0x3a79, v58
	v_fmac_f16_e32 v51, 0x34f2, v54
	v_fmac_f16_e32 v93, 0x34f2, v56
	v_mul_f16_e32 v54, 0xbb9c, v87
	v_fmac_f16_e32 v30, 0x3a79, v86
	v_fmac_f16_e32 v55, 0x38b4, v86
	v_mul_f16_e32 v86, 0x34f2, v87
	v_mul_f16_e32 v62, 0xbb9c, v93
	;; [unrolled: 1-line block ×3, first 2 shown]
	v_fmac_f16_e32 v54, 0x34f2, v89
	v_mul_f16_e32 v90, 0xba79, v51
	v_fmac_f16_e32 v86, 0x3b9c, v89
	v_fmac_f16_e32 v62, 0xb4f2, v92
	;; [unrolled: 1-line block ×3, first 2 shown]
	v_add_f16_e32 v52, v52, v23
	v_mul_f16_e32 v87, 0xb4f2, v93
	v_fmac_f16_e32 v90, 0x38b4, v50
	v_add_f16_e32 v56, v38, v39
	v_sub_f16_e32 v23, v38, v39
	v_add_f16_e32 v57, v48, v30
	v_sub_f16_e32 v30, v48, v30
	;; [unrolled: 2-line block ×7, first 2 shown]
	v_sub_f16_e32 v85, v79, v77
	v_sub_f16_e32 v86, v83, v80
	v_fmac_f16_e32 v87, 0x3b9c, v92
	v_add_f16_e32 v84, v77, v80
	v_add_f16_e32 v59, v66, v52
	v_sub_f16_e32 v52, v66, v52
	v_add_f16_e32 v85, v85, v86
	v_add_f16_e32 v86, v79, v83
	;; [unrolled: 1-line block ×3, first 2 shown]
	v_sub_f16_e32 v65, v69, v87
	v_fma_f16 v84, -0.5, v84, v10
	v_lshrrev_b32_e32 v87, 16, v10
	v_add_f16_e32 v88, v10, v79
	v_sub_f16_e32 v91, v76, v81
	v_fmac_f16_e32 v10, -0.5, v86
	v_sub_f16_e32 v69, v75, v82
	v_sub_f16_e32 v86, v77, v79
	;; [unrolled: 1-line block ×3, first 2 shown]
	v_add_f16_e32 v88, v88, v77
	v_fmamk_f16 v93, v91, 0x3b9c, v10
	v_fmac_f16_e32 v10, 0xbb9c, v91
	v_fmamk_f16 v89, v69, 0xbb9c, v84
	v_fmac_f16_e32 v84, 0x3b9c, v69
	v_add_f16_e32 v86, v86, v92
	v_fmac_f16_e32 v93, 0xb8b4, v69
	v_fmac_f16_e32 v10, 0x38b4, v69
	;; [unrolled: 1-line block ×4, first 2 shown]
	v_add_f16_e32 v88, v88, v80
	v_fmac_f16_e32 v93, 0x34f2, v86
	v_fmac_f16_e32 v10, 0x34f2, v86
	v_add_f16_e32 v86, v87, v75
	v_fmac_f16_e32 v89, 0x34f2, v85
	v_fmac_f16_e32 v84, 0x34f2, v85
	v_add_f16_e32 v85, v88, v83
	v_add_f16_e32 v88, v76, v81
	;; [unrolled: 1-line block ×3, first 2 shown]
	v_sub_f16_e32 v77, v77, v80
	v_add_f16_e32 v80, v75, v82
	v_add_f16_e32 v69, v68, v90
	v_sub_f16_e32 v68, v68, v90
	v_sub_f16_e32 v79, v79, v83
	;; [unrolled: 1-line block ×4, first 2 shown]
	v_fma_f16 v88, -0.5, v88, v87
	v_add_f16_e32 v86, v86, v81
	v_fmac_f16_e32 v87, -0.5, v80
	v_sub_f16_e32 v75, v76, v75
	v_sub_f16_e32 v80, v81, v82
	v_add_f16_e32 v83, v83, v90
	v_fmamk_f16 v90, v79, 0x3b9c, v88
	v_fmac_f16_e32 v88, 0xbb9c, v79
	v_add_f16_e32 v76, v86, v82
	v_fmamk_f16 v81, v77, 0xbb9c, v87
	v_fmac_f16_e32 v87, 0x3b9c, v77
	v_add_f16_e32 v75, v75, v80
	v_sub_f16_e32 v80, v67, v72
	v_sub_f16_e32 v82, v78, v73
	v_fmac_f16_e32 v90, 0x38b4, v77
	v_fmac_f16_e32 v88, 0xb8b4, v77
	v_add_f16_e32 v77, v72, v73
	v_fmac_f16_e32 v81, 0x38b4, v79
	v_fmac_f16_e32 v87, 0xb8b4, v79
	v_add_f16_e32 v79, v67, v78
	v_add_f16_e32 v80, v80, v82
	v_add_f16_e32 v82, v21, v67
	v_fmac_f16_e32 v90, 0x34f2, v83
	v_fmac_f16_e32 v88, 0x34f2, v83
	v_fma_f16 v77, -0.5, v77, v21
	v_sub_f16_e32 v83, v64, v74
	v_sub_f16_e32 v91, v71, v70
	v_fmac_f16_e32 v21, -0.5, v79
	v_add_f16_e32 v82, v82, v72
	v_sub_f16_e32 v79, v72, v67
	v_fmamk_f16 v86, v83, 0xbb9c, v77
	v_fmac_f16_e32 v77, 0x3b9c, v83
	v_sub_f16_e32 v92, v73, v78
	v_fmamk_f16 v94, v91, 0x3b9c, v21
	v_fmac_f16_e32 v21, 0xbb9c, v91
	v_fmac_f16_e32 v81, 0x34f2, v75
	;; [unrolled: 1-line block ×3, first 2 shown]
	v_add_f16_e32 v75, v82, v73
	v_fmac_f16_e32 v86, 0xb8b4, v91
	v_fmac_f16_e32 v77, 0x38b4, v91
	v_add_f16_e32 v79, v79, v92
	v_fmac_f16_e32 v94, 0xb8b4, v83
	v_fmac_f16_e32 v21, 0x38b4, v83
	v_add_f16_e32 v75, v75, v78
	v_sub_f16_e32 v67, v67, v78
	v_add_f16_e32 v78, v71, v70
	v_add_f16_e32 v82, v64, v74
	v_fmac_f16_e32 v86, 0x34f2, v80
	v_fmac_f16_e32 v77, 0x34f2, v80
	;; [unrolled: 1-line block ×4, first 2 shown]
	v_sub_f16_e32 v79, v64, v71
	v_sub_f16_e32 v80, v74, v70
	v_add_f16_e32 v83, v22, v64
	v_fma_f16 v78, -0.5, v78, v22
	v_sub_f16_e32 v72, v72, v73
	v_fmac_f16_e32 v22, -0.5, v82
	v_add_f16_e32 v73, v79, v80
	v_add_f16_e32 v79, v83, v71
	v_fmamk_f16 v80, v67, 0x3b9c, v78
	v_sub_f16_e32 v64, v71, v64
	v_sub_f16_e32 v71, v70, v74
	v_fmamk_f16 v82, v72, 0xbb9c, v22
	v_fmac_f16_e32 v78, 0xbb9c, v67
	v_fmac_f16_e32 v22, 0x3b9c, v72
	v_add_f16_e32 v70, v79, v70
	v_add_f16_e32 v64, v64, v71
	v_fmac_f16_e32 v80, 0x38b4, v72
	v_fmac_f16_e32 v78, 0xb8b4, v72
	;; [unrolled: 1-line block ×4, first 2 shown]
	v_add_f16_e32 v70, v70, v74
	v_fmac_f16_e32 v80, 0x34f2, v73
	v_fmac_f16_e32 v78, 0x34f2, v73
	;; [unrolled: 1-line block ×4, first 2 shown]
	v_sub_f16_e32 v92, v14, v17
	v_mul_f16_e32 v67, 0xb8b4, v80
	v_mul_f16_e32 v74, 0xb8b4, v78
	;; [unrolled: 1-line block ×6, first 2 shown]
	v_fmac_f16_e32 v74, 0xba79, v77
	v_fmac_f16_e32 v73, 0xb4f2, v21
	;; [unrolled: 1-line block ×4, first 2 shown]
	v_add_f16_e32 v21, v85, v75
	v_sub_f16_e32 v75, v85, v75
	v_add_f16_e32 v80, v10, v73
	v_sub_f16_e32 v10, v10, v73
	;; [unrolled: 2-line block ×3, first 2 shown]
	v_sub_f16_e32 v84, v15, v16
	v_sub_f16_e32 v85, v20, v18
	v_mul_f16_e32 v72, 0xbb9c, v82
	v_fmac_f16_e32 v67, 0x3a79, v86
	v_fmac_f16_e32 v71, 0x38b4, v86
	v_mul_f16_e32 v78, 0xba79, v78
	v_add_f16_e32 v83, v81, v64
	v_sub_f16_e32 v64, v81, v64
	v_add_f16_e32 v81, v16, v18
	v_add_f16_e32 v84, v84, v85
	;; [unrolled: 1-line block ×3, first 2 shown]
	v_fmac_f16_e32 v72, 0x34f2, v94
	v_fmac_f16_e32 v78, 0x38b4, v77
	v_add_f16_e32 v77, v89, v67
	v_sub_f16_e32 v67, v89, v67
	v_add_f16_e32 v82, v76, v70
	v_sub_f16_e32 v70, v76, v70
	;; [unrolled: 2-line block ×3, first 2 shown]
	v_fma_f16 v81, -0.5, v81, v8
	v_lshrrev_b32_e32 v89, 16, v8
	v_add_f16_e32 v90, v8, v15
	v_fmac_f16_e32 v8, -0.5, v85
	v_add_f16_e32 v79, v93, v72
	v_sub_f16_e32 v72, v93, v72
	v_add_f16_e32 v86, v87, v22
	v_sub_f16_e32 v22, v87, v22
	v_sub_f16_e32 v87, v13, v19
	;; [unrolled: 1-line block ×4, first 2 shown]
	v_fmamk_f16 v94, v92, 0x3b9c, v8
	v_fmac_f16_e32 v8, 0xbb9c, v92
	v_fmamk_f16 v91, v87, 0xbb9c, v81
	v_fmac_f16_e32 v81, 0x3b9c, v87
	v_add_f16_e32 v85, v85, v93
	v_add_f16_e32 v90, v90, v16
	v_fmac_f16_e32 v94, 0xb8b4, v87
	v_fmac_f16_e32 v8, 0x38b4, v87
	;; [unrolled: 1-line block ×4, first 2 shown]
	v_add_f16_e32 v87, v88, v78
	v_sub_f16_e32 v78, v88, v78
	v_add_f16_e32 v88, v90, v18
	v_fmac_f16_e32 v94, 0x34f2, v85
	v_fmac_f16_e32 v8, 0x34f2, v85
	v_add_f16_e32 v85, v89, v13
	v_fmac_f16_e32 v91, 0x34f2, v84
	v_fmac_f16_e32 v81, 0x34f2, v84
	v_add_f16_e32 v84, v88, v20
	v_add_f16_e32 v88, v14, v17
	;; [unrolled: 1-line block ×3, first 2 shown]
	v_sub_f16_e32 v16, v16, v18
	v_add_f16_e32 v18, v13, v19
	v_sub_f16_e32 v15, v15, v20
	v_sub_f16_e32 v20, v13, v14
	;; [unrolled: 1-line block ×3, first 2 shown]
	v_fma_f16 v88, -0.5, v88, v89
	v_add_f16_e32 v85, v85, v17
	v_fmac_f16_e32 v89, -0.5, v18
	v_sub_f16_e32 v13, v14, v13
	v_sub_f16_e32 v17, v17, v19
	v_add_f16_e32 v20, v20, v90
	v_fmamk_f16 v90, v15, 0x3b9c, v88
	v_fmac_f16_e32 v88, 0xbb9c, v15
	v_add_f16_e32 v14, v85, v19
	v_fmamk_f16 v18, v16, 0xbb9c, v89
	v_fmac_f16_e32 v89, 0x3b9c, v16
	v_add_f16_e32 v13, v13, v17
	v_sub_f16_e32 v17, v3, v4
	v_sub_f16_e32 v19, v12, v7
	v_fmac_f16_e32 v90, 0x38b4, v16
	v_fmac_f16_e32 v88, 0xb8b4, v16
	v_add_f16_e32 v16, v4, v7
	v_fmac_f16_e32 v18, 0x38b4, v15
	v_fmac_f16_e32 v89, 0xb8b4, v15
	v_add_f16_e32 v15, v3, v12
	v_add_f16_e32 v17, v17, v19
	v_add_f16_e32 v19, v0, v3
	v_fmac_f16_e32 v90, 0x34f2, v20
	v_fmac_f16_e32 v88, 0x34f2, v20
	v_fma_f16 v16, -0.5, v16, v0
	v_sub_f16_e32 v20, v2, v11
	v_sub_f16_e32 v92, v5, v6
	v_fmac_f16_e32 v0, -0.5, v15
	v_add_f16_e32 v19, v19, v4
	v_sub_f16_e32 v15, v4, v3
	v_fmamk_f16 v85, v20, 0xbb9c, v16
	v_fmac_f16_e32 v16, 0x3b9c, v20
	v_sub_f16_e32 v93, v7, v12
	v_fmamk_f16 v95, v92, 0x3b9c, v0
	v_fmac_f16_e32 v0, 0xbb9c, v92
	v_fmac_f16_e32 v18, 0x34f2, v13
	;; [unrolled: 1-line block ×3, first 2 shown]
	v_add_f16_e32 v13, v19, v7
	v_fmac_f16_e32 v85, 0xb8b4, v92
	v_fmac_f16_e32 v16, 0x38b4, v92
	v_add_f16_e32 v15, v15, v93
	v_fmac_f16_e32 v95, 0xb8b4, v20
	v_fmac_f16_e32 v0, 0x38b4, v20
	v_add_f16_e32 v13, v13, v12
	v_sub_f16_e32 v3, v3, v12
	v_add_f16_e32 v12, v5, v6
	v_add_f16_e32 v19, v2, v11
	v_fmac_f16_e32 v85, 0x34f2, v17
	v_fmac_f16_e32 v16, 0x34f2, v17
	;; [unrolled: 1-line block ×4, first 2 shown]
	v_sub_f16_e32 v15, v2, v5
	v_sub_f16_e32 v17, v11, v6
	v_fma_f16 v12, -0.5, v12, v1
	v_add_f16_e32 v20, v1, v2
	v_sub_f16_e32 v4, v4, v7
	v_fmac_f16_e32 v1, -0.5, v19
	v_add_f16_e32 v7, v15, v17
	v_fmamk_f16 v17, v3, 0x3b9c, v12
	v_add_f16_e32 v15, v20, v5
	v_sub_f16_e32 v2, v5, v2
	v_sub_f16_e32 v5, v6, v11
	v_fmamk_f16 v19, v4, 0xbb9c, v1
	v_fmac_f16_e32 v1, 0x3b9c, v4
	v_fmac_f16_e32 v12, 0xbb9c, v3
	;; [unrolled: 1-line block ×3, first 2 shown]
	v_add_f16_e32 v2, v2, v5
	v_fmac_f16_e32 v19, 0x38b4, v3
	v_fmac_f16_e32 v1, 0xb8b4, v3
	;; [unrolled: 1-line block ×4, first 2 shown]
	v_add_f16_e32 v6, v15, v6
	v_fmac_f16_e32 v19, 0x34f2, v2
	v_fmac_f16_e32 v1, 0x34f2, v2
	;; [unrolled: 1-line block ×3, first 2 shown]
	v_mul_f16_e32 v3, 0xb8b4, v17
	v_mul_f16_e32 v4, 0x3a79, v17
	v_add_f16_e32 v5, v6, v11
	v_mul_f16_e32 v6, 0xbb9c, v19
	v_mul_f16_e32 v2, 0x34f2, v19
	;; [unrolled: 1-line block ×6, first 2 shown]
	v_fmac_f16_e32 v3, 0x3a79, v85
	v_fmac_f16_e32 v4, 0x38b4, v85
	;; [unrolled: 1-line block ×4, first 2 shown]
	v_pack_b32_f16 v56, v56, v59
	v_fmac_f16_e32 v7, 0xb4f2, v0
	v_fmac_f16_e32 v1, 0x3b9c, v0
	v_pack_b32_f16 v57, v57, v62
	v_fmac_f16_e32 v11, 0xba79, v16
	v_fmac_f16_e32 v12, 0x38b4, v16
	v_pack_b32_f16 v58, v58, v63
	v_add_f16_e32 v0, v84, v13
	v_add_f16_e32 v19, v14, v5
	v_pack_b32_f16 v50, v50, v66
	v_add_f16_e32 v15, v91, v3
	v_sub_f16_e32 v5, v14, v5
	v_add_f16_e32 v14, v90, v4
	v_pack_b32_f16 v51, v51, v69
	v_pack_b32_f16 v23, v23, v52
	;; [unrolled: 1-line block ×3, first 2 shown]
	v_add_f16_e32 v16, v94, v6
	v_add_f16_e32 v20, v18, v2
	global_wb scope:SCOPE_SE
	s_barrier_signal -1
	s_barrier_wait -1
	global_inv scope:SCOPE_SE
	v_pack_b32_f16 v30, v30, v54
	v_pack_b32_f16 v38, v38, v55
	;; [unrolled: 1-line block ×4, first 2 shown]
	ds_store_b32 v40, v56
	ds_store_b32 v40, v57 offset:1200
	ds_store_b32 v40, v58 offset:2400
	ds_store_b32 v40, v50 offset:3600
	ds_store_b32 v40, v51 offset:4800
	ds_store_b32 v40, v23 offset:6000
	ds_store_b32 v40, v30 offset:7200
	ds_store_b32 v40, v38 offset:8400
	ds_store_b32 v40, v39 offset:9600
	ds_store_b32 v40, v48 offset:10800
	v_pack_b32_f16 v23, v77, v76
	v_add_f16_e32 v17, v8, v7
	v_sub_f16_e32 v2, v18, v2
	v_add_f16_e32 v18, v89, v1
	v_pack_b32_f16 v30, v79, v83
	v_sub_f16_e32 v7, v8, v7
	v_add_f16_e32 v8, v81, v11
	v_sub_f16_e32 v11, v81, v11
	v_add_f16_e32 v81, v88, v12
	v_pack_b32_f16 v38, v80, v86
	v_sub_f16_e32 v13, v84, v13
	v_sub_f16_e32 v3, v91, v3
	v_sub_f16_e32 v6, v94, v6
	v_sub_f16_e32 v4, v90, v4
	v_sub_f16_e32 v1, v89, v1
	v_sub_f16_e32 v12, v88, v12
	v_pack_b32_f16 v39, v73, v87
	v_pack_b32_f16 v10, v10, v22
	;; [unrolled: 1-line block ×7, first 2 shown]
	ds_store_b32 v61, v21
	ds_store_b32 v61, v23 offset:1200
	ds_store_b32 v61, v30 offset:2400
	;; [unrolled: 1-line block ×9, first 2 shown]
	v_pack_b32_f16 v10, v15, v14
	v_pack_b32_f16 v14, v16, v20
	;; [unrolled: 1-line block ×9, first 2 shown]
	ds_store_b32 v60, v0
	ds_store_b32 v60, v10 offset:1200
	ds_store_b32 v60, v14 offset:2400
	;; [unrolled: 1-line block ×9, first 2 shown]
	global_wb scope:SCOPE_SE
	s_wait_dscnt 0x0
	s_barrier_signal -1
	s_barrier_wait -1
	global_inv scope:SCOPE_SE
	ds_load_b32 v8, v40
	v_sub_nc_u32_e32 v2, 0, v25
                                        ; implicit-def: $vgpr6
                                        ; implicit-def: $vgpr5
                                        ; implicit-def: $vgpr4
                                        ; implicit-def: $vgpr0_vgpr1
	s_wait_dscnt 0x0
	v_lshrrev_b32_e32 v10, 16, v8
	v_cmpx_ne_u32_e32 0, v24
	s_wait_alu 0xfffe
	s_xor_b32 s1, exec_lo, s1
	s_cbranch_execz .LBB0_15
; %bb.14:
	v_mov_b32_e32 v25, v9
	s_delay_alu instid0(VALU_DEP_1) | instskip(NEXT) | instid1(VALU_DEP_1)
	v_lshlrev_b64_e32 v[0:1], 2, v[24:25]
	v_add_co_u32 v0, s0, s4, v0
	s_wait_alu 0xf1ff
	s_delay_alu instid0(VALU_DEP_2)
	v_add_co_ci_u32_e64 v1, s0, s5, v1, s0
	global_load_b32 v0, v[0:1], off offset:11960
	ds_load_b32 v1, v2 offset:12000
	s_wait_dscnt 0x0
	v_sub_f16_e32 v4, v8, v1
	v_lshrrev_b32_e32 v3, 16, v1
	v_add_f16_e32 v1, v1, v8
	s_delay_alu instid0(VALU_DEP_3) | instskip(NEXT) | instid1(VALU_DEP_3)
	v_mul_f16_e32 v6, 0.5, v4
	v_add_f16_e32 v5, v3, v10
	v_sub_f16_e32 v3, v10, v3
                                        ; implicit-def: $vgpr10
	s_delay_alu instid0(VALU_DEP_2) | instskip(NEXT) | instid1(VALU_DEP_2)
	v_mul_f16_e32 v5, 0.5, v5
	v_mul_f16_e32 v3, 0.5, v3
	s_wait_loadcnt 0x0
	v_lshrrev_b32_e32 v4, 16, v0
	s_delay_alu instid0(VALU_DEP_1) | instskip(NEXT) | instid1(VALU_DEP_3)
	v_mul_f16_e32 v7, v4, v6
	v_fma_f16 v8, v5, v4, v3
	v_fma_f16 v3, v5, v4, -v3
	s_delay_alu instid0(VALU_DEP_3) | instskip(SKIP_1) | instid1(VALU_DEP_4)
	v_fma_f16 v9, 0.5, v1, v7
	v_fma_f16 v1, v1, 0.5, -v7
	v_fma_f16 v4, -v0, v6, v8
	s_delay_alu instid0(VALU_DEP_4) | instskip(NEXT) | instid1(VALU_DEP_4)
	v_fma_f16 v6, -v0, v6, v3
                                        ; implicit-def: $vgpr8
	v_fmac_f16_e32 v9, v0, v5
	s_delay_alu instid0(VALU_DEP_4)
	v_fma_f16 v5, -v0, v5, v1
	v_dual_mov_b32 v0, v24 :: v_dual_mov_b32 v1, v25
	ds_store_b16 v40, v9
.LBB0_15:
	s_wait_alu 0xfffe
	s_or_saveexec_b32 s0, s1
	v_mul_i32_i24_e32 v7, 0xffffffdc, v29
	v_mul_i32_i24_e32 v3, 0xffffffdc, v37
	s_wait_alu 0xfffe
	s_xor_b32 exec_lo, exec_lo, s0
	s_cbranch_execz .LBB0_17
; %bb.16:
	v_mov_b32_e32 v4, 0
	v_add_f16_e32 v9, v10, v8
	v_sub_f16_e32 v5, v8, v10
	v_mov_b32_e32 v6, 0
	ds_load_u16 v0, v4 offset:6002
	s_wait_dscnt 0x0
	v_xor_b32_e32 v8, 0x8000, v0
	v_mov_b32_e32 v0, 0
	v_mov_b32_e32 v1, 0
	ds_store_b16 v40, v9
	ds_store_b16 v4, v8 offset:6002
.LBB0_17:
	s_or_b32 exec_lo, exec_lo, s0
	v_dual_mov_b32 v30, 0 :: v_dual_add_nc_u32 v7, v42, v7
	ds_store_b16 v40, v4 offset:2
	ds_load_b32 v14, v2 offset:11600
	v_lshlrev_b64_e32 v[0:1], 2, v[0:1]
	v_lshlrev_b64_e32 v[8:9], 2, v[29:30]
	v_dual_mov_b32 v38, v30 :: v_dual_mov_b32 v29, v30
	s_delay_alu instid0(VALU_DEP_2) | instskip(SKIP_1) | instid1(VALU_DEP_3)
	v_add_co_u32 v8, s0, s4, v8
	s_wait_alu 0xf1ff
	v_add_co_ci_u32_e64 v9, s0, s5, v9, s0
	global_load_b32 v10, v[8:9], off offset:11960
	v_lshlrev_b64_e32 v[8:9], 2, v[37:38]
	v_mov_b32_e32 v37, v30
	s_delay_alu instid0(VALU_DEP_2) | instskip(SKIP_1) | instid1(VALU_DEP_3)
	v_add_co_u32 v8, s0, s4, v8
	s_wait_alu 0xf1ff
	v_add_co_ci_u32_e64 v9, s0, s5, v9, s0
	global_load_b32 v11, v[8:9], off offset:11960
	v_lshlrev_b64_e32 v[8:9], 2, v[36:37]
	v_mov_b32_e32 v36, v30
	;; [unrolled: 7-line block ×4, first 2 shown]
	s_delay_alu instid0(VALU_DEP_2) | instskip(SKIP_1) | instid1(VALU_DEP_3)
	v_add_co_u32 v8, s0, s4, v8
	s_wait_alu 0xf1ff
	v_add_co_ci_u32_e64 v9, s0, s5, v9, s0
	global_load_b32 v8, v[8:9], off offset:11960
	v_perm_b32 v9, v6, v5, 0x5040100
	v_lshlrev_b64_e32 v[5:6], 2, v[33:34]
	v_mov_b32_e32 v33, v30
	ds_store_b32 v2, v9 offset:12000
	ds_load_b32 v9, v7
	v_add_co_u32 v4, s0, s4, v5
	s_wait_alu 0xf1ff
	v_add_co_ci_u32_e64 v5, s0, s5, v6, s0
	global_load_b32 v15, v[4:5], off offset:11960
	s_wait_dscnt 0x0
	v_pk_add_f16 v4, v9, v14 neg_lo:[0,1] neg_hi:[0,1]
	v_pk_add_f16 v5, v9, v14
	s_delay_alu instid0(VALU_DEP_1) | instskip(SKIP_1) | instid1(VALU_DEP_2)
	v_bfi_b32 v6, 0xffff, v4, v5
	v_bfi_b32 v4, 0xffff, v5, v4
	v_pk_mul_f16 v5, v6, 0.5 op_sel_hi:[1,0]
	s_delay_alu instid0(VALU_DEP_2) | instskip(SKIP_1) | instid1(VALU_DEP_1)
	v_pk_mul_f16 v4, v4, 0.5 op_sel_hi:[1,0]
	s_wait_loadcnt 0x5
	v_pk_fma_f16 v6, v10, v5, v4 op_sel:[1,0,0]
	v_pk_mul_f16 v9, v10, v5 op_sel_hi:[0,1]
	v_pk_fma_f16 v14, v10, v5, v4 op_sel:[1,0,0] neg_lo:[1,0,0] neg_hi:[1,0,0]
	v_pk_fma_f16 v4, v10, v5, v4 op_sel:[1,0,0] neg_lo:[0,0,1] neg_hi:[0,0,1]
	s_delay_alu instid0(VALU_DEP_3) | instskip(SKIP_1) | instid1(VALU_DEP_4)
	v_pk_add_f16 v5, v6, v9 op_sel:[0,1] op_sel_hi:[1,0]
	v_pk_add_f16 v6, v6, v9 op_sel:[0,1] op_sel_hi:[1,0] neg_lo:[0,1] neg_hi:[0,1]
	v_pk_add_f16 v10, v14, v9 op_sel:[0,1] op_sel_hi:[1,0] neg_lo:[0,1] neg_hi:[0,1]
	s_delay_alu instid0(VALU_DEP_4) | instskip(SKIP_1) | instid1(VALU_DEP_4)
	v_pk_add_f16 v4, v4, v9 op_sel:[0,1] op_sel_hi:[1,0] neg_lo:[0,1] neg_hi:[0,1]
	v_add_nc_u32_e32 v9, v41, v3
	v_bfi_b32 v5, 0xffff, v5, v6
	s_delay_alu instid0(VALU_DEP_3)
	v_bfi_b32 v6, 0xffff, v10, v4
	v_lshlrev_b64_e32 v[3:4], 2, v[32:33]
	v_mov_b32_e32 v32, v30
	ds_store_b32 v7, v5
	ds_store_b32 v2, v6 offset:11600
	ds_load_b32 v5, v9
	ds_load_b32 v6, v2 offset:11200
	v_add_co_u32 v3, s0, s4, v3
	s_wait_alu 0xf1ff
	v_add_co_ci_u32_e64 v4, s0, s5, v4, s0
	global_load_b32 v7, v[3:4], off offset:11960
	s_wait_dscnt 0x0
	v_pk_add_f16 v3, v5, v6 neg_lo:[0,1] neg_hi:[0,1]
	v_pk_add_f16 v4, v5, v6
	s_delay_alu instid0(VALU_DEP_1) | instskip(SKIP_1) | instid1(VALU_DEP_2)
	v_bfi_b32 v5, 0xffff, v3, v4
	v_bfi_b32 v3, 0xffff, v4, v3
	v_pk_mul_f16 v4, v5, 0.5 op_sel_hi:[1,0]
	s_delay_alu instid0(VALU_DEP_2) | instskip(SKIP_1) | instid1(VALU_DEP_2)
	v_pk_mul_f16 v3, v3, 0.5 op_sel_hi:[1,0]
	s_wait_loadcnt 0x5
	v_pk_mul_f16 v6, v11, v4 op_sel_hi:[0,1]
	s_delay_alu instid0(VALU_DEP_2) | instskip(SKIP_2) | instid1(VALU_DEP_3)
	v_pk_fma_f16 v5, v11, v4, v3 op_sel:[1,0,0]
	v_pk_fma_f16 v10, v11, v4, v3 op_sel:[1,0,0] neg_lo:[1,0,0] neg_hi:[1,0,0]
	v_pk_fma_f16 v3, v11, v4, v3 op_sel:[1,0,0] neg_lo:[0,0,1] neg_hi:[0,0,1]
	v_pk_add_f16 v4, v5, v6 op_sel:[0,1] op_sel_hi:[1,0]
	v_pk_add_f16 v5, v5, v6 op_sel:[0,1] op_sel_hi:[1,0] neg_lo:[0,1] neg_hi:[0,1]
	s_delay_alu instid0(VALU_DEP_4) | instskip(NEXT) | instid1(VALU_DEP_4)
	v_pk_add_f16 v10, v10, v6 op_sel:[0,1] op_sel_hi:[1,0] neg_lo:[0,1] neg_hi:[0,1]
	v_pk_add_f16 v3, v3, v6 op_sel:[0,1] op_sel_hi:[1,0] neg_lo:[0,1] neg_hi:[0,1]
	s_delay_alu instid0(VALU_DEP_3) | instskip(NEXT) | instid1(VALU_DEP_2)
	v_bfi_b32 v5, 0xffff, v4, v5
	v_bfi_b32 v6, 0xffff, v10, v3
	v_lshlrev_b64_e32 v[3:4], 2, v[31:32]
	ds_store_b32 v9, v5
	ds_store_b32 v2, v6 offset:11200
	ds_load_b32 v5, v44
	ds_load_b32 v6, v2 offset:10800
	v_add_co_u32 v3, s0, s4, v3
	s_wait_alu 0xf1ff
	v_add_co_ci_u32_e64 v4, s0, s5, v4, s0
	s_add_nc_u64 s[0:1], s[4:5], 0x2eb8
	global_load_b32 v9, v[3:4], off offset:11960
	v_lshlrev_b64_e32 v[3:4], 2, v[28:29]
	s_wait_dscnt 0x0
	v_pk_add_f16 v10, v5, v6 neg_lo:[0,1] neg_hi:[0,1]
	v_pk_add_f16 v11, v5, v6
	s_wait_alu 0xfffe
	v_add_co_u32 v5, s0, s0, v0
	s_wait_alu 0xf1ff
	v_add_co_ci_u32_e64 v6, s0, s1, v1, s0
	v_bfi_b32 v14, 0xffff, v10, v11
	v_bfi_b32 v10, 0xffff, v11, v10
	v_add_co_u32 v3, s0, s4, v3
	s_wait_alu 0xf1ff
	v_add_co_ci_u32_e64 v4, s0, s5, v4, s0
	v_pk_mul_f16 v11, v14, 0.5 op_sel_hi:[1,0]
	v_pk_mul_f16 v10, v10, 0.5 op_sel_hi:[1,0]
	s_clause 0x1
	global_load_b32 v3, v[3:4], off offset:11960
	global_load_b32 v4, v[5:6], off offset:4000
	s_wait_loadcnt 0x7
	v_pk_mul_f16 v16, v12, v11 op_sel_hi:[0,1]
	v_pk_fma_f16 v14, v12, v11, v10 op_sel:[1,0,0]
	v_pk_fma_f16 v17, v12, v11, v10 op_sel:[1,0,0] neg_lo:[1,0,0] neg_hi:[1,0,0]
	v_pk_fma_f16 v10, v12, v11, v10 op_sel:[1,0,0] neg_lo:[0,0,1] neg_hi:[0,0,1]
	s_delay_alu instid0(VALU_DEP_3) | instskip(SKIP_1) | instid1(VALU_DEP_4)
	v_pk_add_f16 v11, v14, v16 op_sel:[0,1] op_sel_hi:[1,0]
	v_pk_add_f16 v12, v14, v16 op_sel:[0,1] op_sel_hi:[1,0] neg_lo:[0,1] neg_hi:[0,1]
	v_pk_add_f16 v14, v17, v16 op_sel:[0,1] op_sel_hi:[1,0] neg_lo:[0,1] neg_hi:[0,1]
	s_delay_alu instid0(VALU_DEP_4) | instskip(NEXT) | instid1(VALU_DEP_3)
	v_pk_add_f16 v10, v10, v16 op_sel:[0,1] op_sel_hi:[1,0] neg_lo:[0,1] neg_hi:[0,1]
	v_bfi_b32 v11, 0xffff, v11, v12
	s_delay_alu instid0(VALU_DEP_2)
	v_bfi_b32 v10, 0xffff, v14, v10
	ds_store_b32 v44, v11
	ds_store_b32 v2, v10 offset:10800
	ds_load_b32 v10, v49
	ds_load_b32 v11, v2 offset:10400
	s_wait_dscnt 0x0
	v_pk_add_f16 v12, v10, v11 neg_lo:[0,1] neg_hi:[0,1]
	v_pk_add_f16 v10, v10, v11
	s_delay_alu instid0(VALU_DEP_1) | instskip(SKIP_1) | instid1(VALU_DEP_2)
	v_bfi_b32 v11, 0xffff, v12, v10
	v_bfi_b32 v10, 0xffff, v10, v12
	v_pk_mul_f16 v11, v11, 0.5 op_sel_hi:[1,0]
	s_delay_alu instid0(VALU_DEP_2) | instskip(SKIP_1) | instid1(VALU_DEP_2)
	v_pk_mul_f16 v10, v10, 0.5 op_sel_hi:[1,0]
	s_wait_loadcnt 0x6
	v_pk_mul_f16 v14, v13, v11 op_sel_hi:[0,1]
	s_delay_alu instid0(VALU_DEP_2) | instskip(SKIP_2) | instid1(VALU_DEP_3)
	v_pk_fma_f16 v12, v13, v11, v10 op_sel:[1,0,0]
	v_pk_fma_f16 v16, v13, v11, v10 op_sel:[1,0,0] neg_lo:[1,0,0] neg_hi:[1,0,0]
	v_pk_fma_f16 v10, v13, v11, v10 op_sel:[1,0,0] neg_lo:[0,0,1] neg_hi:[0,0,1]
	v_pk_add_f16 v11, v12, v14 op_sel:[0,1] op_sel_hi:[1,0]
	v_pk_add_f16 v12, v12, v14 op_sel:[0,1] op_sel_hi:[1,0] neg_lo:[0,1] neg_hi:[0,1]
	s_delay_alu instid0(VALU_DEP_4) | instskip(NEXT) | instid1(VALU_DEP_4)
	v_pk_add_f16 v13, v16, v14 op_sel:[0,1] op_sel_hi:[1,0] neg_lo:[0,1] neg_hi:[0,1]
	v_pk_add_f16 v10, v10, v14 op_sel:[0,1] op_sel_hi:[1,0] neg_lo:[0,1] neg_hi:[0,1]
	s_delay_alu instid0(VALU_DEP_3) | instskip(NEXT) | instid1(VALU_DEP_2)
	v_bfi_b32 v11, 0xffff, v11, v12
	v_bfi_b32 v10, 0xffff, v13, v10
	ds_store_b32 v49, v11
	ds_store_b32 v2, v10 offset:10400
	ds_load_b32 v10, v47
	ds_load_b32 v11, v2 offset:10000
	s_wait_dscnt 0x0
	v_pk_add_f16 v12, v10, v11 neg_lo:[0,1] neg_hi:[0,1]
	v_pk_add_f16 v10, v10, v11
	s_delay_alu instid0(VALU_DEP_1) | instskip(SKIP_1) | instid1(VALU_DEP_2)
	v_bfi_b32 v11, 0xffff, v12, v10
	v_bfi_b32 v10, 0xffff, v10, v12
	v_pk_mul_f16 v11, v11, 0.5 op_sel_hi:[1,0]
	s_delay_alu instid0(VALU_DEP_2) | instskip(SKIP_1) | instid1(VALU_DEP_2)
	v_pk_mul_f16 v10, v10, 0.5 op_sel_hi:[1,0]
	s_wait_loadcnt 0x5
	v_pk_mul_f16 v13, v8, v11 op_sel_hi:[0,1]
	s_delay_alu instid0(VALU_DEP_2) | instskip(SKIP_2) | instid1(VALU_DEP_3)
	v_pk_fma_f16 v12, v8, v11, v10 op_sel:[1,0,0]
	v_pk_fma_f16 v14, v8, v11, v10 op_sel:[1,0,0] neg_lo:[1,0,0] neg_hi:[1,0,0]
	v_pk_fma_f16 v8, v8, v11, v10 op_sel:[1,0,0] neg_lo:[0,0,1] neg_hi:[0,0,1]
	v_pk_add_f16 v10, v12, v13 op_sel:[0,1] op_sel_hi:[1,0]
	v_pk_add_f16 v11, v12, v13 op_sel:[0,1] op_sel_hi:[1,0] neg_lo:[0,1] neg_hi:[0,1]
	s_delay_alu instid0(VALU_DEP_4) | instskip(NEXT) | instid1(VALU_DEP_4)
	v_pk_add_f16 v12, v14, v13 op_sel:[0,1] op_sel_hi:[1,0] neg_lo:[0,1] neg_hi:[0,1]
	v_pk_add_f16 v8, v8, v13 op_sel:[0,1] op_sel_hi:[1,0] neg_lo:[0,1] neg_hi:[0,1]
	s_delay_alu instid0(VALU_DEP_3) | instskip(NEXT) | instid1(VALU_DEP_2)
	v_bfi_b32 v10, 0xffff, v10, v11
	v_bfi_b32 v8, 0xffff, v12, v8
	ds_store_b32 v47, v10
	ds_store_b32 v2, v8 offset:10000
	ds_load_b32 v8, v46
	ds_load_b32 v10, v2 offset:9600
	global_load_b32 v11, v[5:6], off offset:4400
	s_wait_dscnt 0x0
	v_pk_add_f16 v12, v8, v10 neg_lo:[0,1] neg_hi:[0,1]
	v_pk_add_f16 v8, v8, v10
	s_delay_alu instid0(VALU_DEP_1) | instskip(SKIP_1) | instid1(VALU_DEP_2)
	v_bfi_b32 v10, 0xffff, v12, v8
	v_bfi_b32 v8, 0xffff, v8, v12
	v_pk_mul_f16 v10, v10, 0.5 op_sel_hi:[1,0]
	s_delay_alu instid0(VALU_DEP_2) | instskip(SKIP_1) | instid1(VALU_DEP_2)
	v_pk_mul_f16 v8, v8, 0.5 op_sel_hi:[1,0]
	s_wait_loadcnt 0x5
	v_pk_mul_f16 v13, v15, v10 op_sel_hi:[0,1]
	s_delay_alu instid0(VALU_DEP_2) | instskip(SKIP_2) | instid1(VALU_DEP_3)
	v_pk_fma_f16 v12, v15, v10, v8 op_sel:[1,0,0]
	v_pk_fma_f16 v14, v15, v10, v8 op_sel:[1,0,0] neg_lo:[1,0,0] neg_hi:[1,0,0]
	v_pk_fma_f16 v8, v15, v10, v8 op_sel:[1,0,0] neg_lo:[0,0,1] neg_hi:[0,0,1]
	v_pk_add_f16 v10, v12, v13 op_sel:[0,1] op_sel_hi:[1,0]
	v_pk_add_f16 v12, v12, v13 op_sel:[0,1] op_sel_hi:[1,0] neg_lo:[0,1] neg_hi:[0,1]
	s_delay_alu instid0(VALU_DEP_4) | instskip(NEXT) | instid1(VALU_DEP_4)
	v_pk_add_f16 v14, v14, v13 op_sel:[0,1] op_sel_hi:[1,0] neg_lo:[0,1] neg_hi:[0,1]
	v_pk_add_f16 v8, v8, v13 op_sel:[0,1] op_sel_hi:[1,0] neg_lo:[0,1] neg_hi:[0,1]
	s_delay_alu instid0(VALU_DEP_3) | instskip(NEXT) | instid1(VALU_DEP_2)
	v_bfi_b32 v10, 0xffff, v10, v12
	v_bfi_b32 v8, 0xffff, v14, v8
	ds_store_b32 v46, v10
	ds_store_b32 v2, v8 offset:9600
	ds_load_b32 v8, v45
	ds_load_b32 v10, v2 offset:9200
	global_load_b32 v12, v[5:6], off offset:4800
	s_wait_dscnt 0x0
	v_pk_add_f16 v13, v8, v10 neg_lo:[0,1] neg_hi:[0,1]
	v_pk_add_f16 v8, v8, v10
	s_delay_alu instid0(VALU_DEP_1) | instskip(SKIP_1) | instid1(VALU_DEP_2)
	v_bfi_b32 v10, 0xffff, v13, v8
	v_bfi_b32 v8, 0xffff, v8, v13
	v_pk_mul_f16 v10, v10, 0.5 op_sel_hi:[1,0]
	s_delay_alu instid0(VALU_DEP_2) | instskip(SKIP_1) | instid1(VALU_DEP_1)
	v_pk_mul_f16 v8, v8, 0.5 op_sel_hi:[1,0]
	s_wait_loadcnt 0x5
	v_pk_fma_f16 v13, v7, v10, v8 op_sel:[1,0,0]
	v_pk_mul_f16 v14, v7, v10 op_sel_hi:[0,1]
	v_pk_fma_f16 v15, v7, v10, v8 op_sel:[1,0,0] neg_lo:[1,0,0] neg_hi:[1,0,0]
	v_pk_fma_f16 v7, v7, v10, v8 op_sel:[1,0,0] neg_lo:[0,0,1] neg_hi:[0,0,1]
	s_delay_alu instid0(VALU_DEP_3) | instskip(SKIP_1) | instid1(VALU_DEP_4)
	v_pk_add_f16 v8, v13, v14 op_sel:[0,1] op_sel_hi:[1,0]
	v_pk_add_f16 v10, v13, v14 op_sel:[0,1] op_sel_hi:[1,0] neg_lo:[0,1] neg_hi:[0,1]
	v_pk_add_f16 v13, v15, v14 op_sel:[0,1] op_sel_hi:[1,0] neg_lo:[0,1] neg_hi:[0,1]
	s_delay_alu instid0(VALU_DEP_4) | instskip(NEXT) | instid1(VALU_DEP_3)
	v_pk_add_f16 v7, v7, v14 op_sel:[0,1] op_sel_hi:[1,0] neg_lo:[0,1] neg_hi:[0,1]
	v_bfi_b32 v8, 0xffff, v8, v10
	s_delay_alu instid0(VALU_DEP_2)
	v_bfi_b32 v7, 0xffff, v13, v7
	ds_store_b32 v45, v8
	ds_store_b32 v2, v7 offset:9200
	ds_load_b32 v7, v43
	ds_load_b32 v8, v2 offset:8800
	global_load_b32 v10, v[5:6], off offset:5200
	s_wait_dscnt 0x0
	v_pk_add_f16 v13, v7, v8 neg_lo:[0,1] neg_hi:[0,1]
	v_pk_add_f16 v7, v7, v8
	s_delay_alu instid0(VALU_DEP_1) | instskip(SKIP_1) | instid1(VALU_DEP_2)
	v_bfi_b32 v8, 0xffff, v13, v7
	v_bfi_b32 v7, 0xffff, v7, v13
	v_pk_mul_f16 v8, v8, 0.5 op_sel_hi:[1,0]
	s_delay_alu instid0(VALU_DEP_2) | instskip(SKIP_1) | instid1(VALU_DEP_2)
	v_pk_mul_f16 v7, v7, 0.5 op_sel_hi:[1,0]
	s_wait_loadcnt 0x5
	v_pk_mul_f16 v14, v9, v8 op_sel_hi:[0,1]
	s_delay_alu instid0(VALU_DEP_2) | instskip(SKIP_2) | instid1(VALU_DEP_3)
	v_pk_fma_f16 v13, v9, v8, v7 op_sel:[1,0,0]
	v_pk_fma_f16 v15, v9, v8, v7 op_sel:[1,0,0] neg_lo:[1,0,0] neg_hi:[1,0,0]
	v_pk_fma_f16 v7, v9, v8, v7 op_sel:[1,0,0] neg_lo:[0,0,1] neg_hi:[0,0,1]
	v_pk_add_f16 v8, v13, v14 op_sel:[0,1] op_sel_hi:[1,0]
	v_pk_add_f16 v9, v13, v14 op_sel:[0,1] op_sel_hi:[1,0] neg_lo:[0,1] neg_hi:[0,1]
	s_delay_alu instid0(VALU_DEP_4) | instskip(NEXT) | instid1(VALU_DEP_4)
	v_pk_add_f16 v13, v15, v14 op_sel:[0,1] op_sel_hi:[1,0] neg_lo:[0,1] neg_hi:[0,1]
	v_pk_add_f16 v7, v7, v14 op_sel:[0,1] op_sel_hi:[1,0] neg_lo:[0,1] neg_hi:[0,1]
	s_delay_alu instid0(VALU_DEP_3) | instskip(NEXT) | instid1(VALU_DEP_2)
	v_bfi_b32 v8, 0xffff, v8, v9
	v_bfi_b32 v7, 0xffff, v13, v7
	ds_store_b32 v43, v8
	ds_store_b32 v2, v7 offset:8800
	ds_load_b32 v7, v53
	ds_load_b32 v8, v2 offset:8400
	global_load_b32 v5, v[5:6], off offset:5600
	s_wait_dscnt 0x0
	v_pk_add_f16 v6, v7, v8 neg_lo:[0,1] neg_hi:[0,1]
	v_pk_add_f16 v7, v7, v8
	s_delay_alu instid0(VALU_DEP_1) | instskip(SKIP_1) | instid1(VALU_DEP_2)
	v_bfi_b32 v8, 0xffff, v6, v7
	v_bfi_b32 v6, 0xffff, v7, v6
	v_pk_mul_f16 v7, v8, 0.5 op_sel_hi:[1,0]
	s_delay_alu instid0(VALU_DEP_2) | instskip(SKIP_1) | instid1(VALU_DEP_2)
	v_pk_mul_f16 v6, v6, 0.5 op_sel_hi:[1,0]
	s_wait_loadcnt 0x5
	v_pk_mul_f16 v9, v3, v7 op_sel_hi:[0,1]
	s_delay_alu instid0(VALU_DEP_2) | instskip(SKIP_2) | instid1(VALU_DEP_3)
	v_pk_fma_f16 v8, v3, v7, v6 op_sel:[1,0,0]
	v_pk_fma_f16 v13, v3, v7, v6 op_sel:[1,0,0] neg_lo:[1,0,0] neg_hi:[1,0,0]
	v_pk_fma_f16 v3, v3, v7, v6 op_sel:[1,0,0] neg_lo:[0,0,1] neg_hi:[0,0,1]
	v_pk_add_f16 v6, v8, v9 op_sel:[0,1] op_sel_hi:[1,0]
	v_pk_add_f16 v7, v8, v9 op_sel:[0,1] op_sel_hi:[1,0] neg_lo:[0,1] neg_hi:[0,1]
	s_delay_alu instid0(VALU_DEP_4) | instskip(NEXT) | instid1(VALU_DEP_4)
	v_pk_add_f16 v8, v13, v9 op_sel:[0,1] op_sel_hi:[1,0] neg_lo:[0,1] neg_hi:[0,1]
	v_pk_add_f16 v3, v3, v9 op_sel:[0,1] op_sel_hi:[1,0] neg_lo:[0,1] neg_hi:[0,1]
	s_delay_alu instid0(VALU_DEP_3) | instskip(NEXT) | instid1(VALU_DEP_2)
	v_bfi_b32 v6, 0xffff, v6, v7
	v_bfi_b32 v3, 0xffff, v8, v3
	ds_store_b32 v53, v6
	ds_store_b32 v2, v3 offset:8400
	ds_load_b32 v3, v40 offset:4000
	ds_load_b32 v6, v2 offset:8000
	s_wait_dscnt 0x0
	v_pk_add_f16 v7, v3, v6 neg_lo:[0,1] neg_hi:[0,1]
	v_pk_add_f16 v3, v3, v6
	s_delay_alu instid0(VALU_DEP_1) | instskip(SKIP_1) | instid1(VALU_DEP_2)
	v_bfi_b32 v6, 0xffff, v7, v3
	v_bfi_b32 v3, 0xffff, v3, v7
	v_pk_mul_f16 v6, v6, 0.5 op_sel_hi:[1,0]
	s_delay_alu instid0(VALU_DEP_2) | instskip(SKIP_1) | instid1(VALU_DEP_2)
	v_pk_mul_f16 v3, v3, 0.5 op_sel_hi:[1,0]
	s_wait_loadcnt 0x4
	v_pk_mul_f16 v8, v4, v6 op_sel_hi:[0,1]
	s_delay_alu instid0(VALU_DEP_2) | instskip(SKIP_2) | instid1(VALU_DEP_3)
	v_pk_fma_f16 v7, v4, v6, v3 op_sel:[1,0,0]
	v_pk_fma_f16 v9, v4, v6, v3 op_sel:[1,0,0] neg_lo:[1,0,0] neg_hi:[1,0,0]
	v_pk_fma_f16 v3, v4, v6, v3 op_sel:[1,0,0] neg_lo:[0,0,1] neg_hi:[0,0,1]
	v_pk_add_f16 v4, v7, v8 op_sel:[0,1] op_sel_hi:[1,0]
	v_pk_add_f16 v6, v7, v8 op_sel:[0,1] op_sel_hi:[1,0] neg_lo:[0,1] neg_hi:[0,1]
	s_delay_alu instid0(VALU_DEP_4) | instskip(NEXT) | instid1(VALU_DEP_4)
	v_pk_add_f16 v7, v9, v8 op_sel:[0,1] op_sel_hi:[1,0] neg_lo:[0,1] neg_hi:[0,1]
	v_pk_add_f16 v3, v3, v8 op_sel:[0,1] op_sel_hi:[1,0] neg_lo:[0,1] neg_hi:[0,1]
	s_delay_alu instid0(VALU_DEP_3) | instskip(NEXT) | instid1(VALU_DEP_2)
	v_bfi_b32 v4, 0xffff, v4, v6
	v_bfi_b32 v3, 0xffff, v7, v3
	ds_store_b32 v40, v4 offset:4000
	ds_store_b32 v2, v3 offset:8000
	ds_load_b32 v3, v40 offset:4400
	ds_load_b32 v4, v2 offset:7600
	s_wait_dscnt 0x0
	v_pk_add_f16 v6, v3, v4 neg_lo:[0,1] neg_hi:[0,1]
	v_pk_add_f16 v3, v3, v4
	s_delay_alu instid0(VALU_DEP_1) | instskip(SKIP_1) | instid1(VALU_DEP_2)
	v_bfi_b32 v4, 0xffff, v6, v3
	v_bfi_b32 v3, 0xffff, v3, v6
	v_pk_mul_f16 v4, v4, 0.5 op_sel_hi:[1,0]
	s_delay_alu instid0(VALU_DEP_2) | instskip(SKIP_1) | instid1(VALU_DEP_2)
	v_pk_mul_f16 v3, v3, 0.5 op_sel_hi:[1,0]
	s_wait_loadcnt 0x3
	v_pk_mul_f16 v7, v11, v4 op_sel_hi:[0,1]
	s_delay_alu instid0(VALU_DEP_2) | instskip(SKIP_2) | instid1(VALU_DEP_3)
	v_pk_fma_f16 v6, v11, v4, v3 op_sel:[1,0,0]
	v_pk_fma_f16 v8, v11, v4, v3 op_sel:[1,0,0] neg_lo:[1,0,0] neg_hi:[1,0,0]
	v_pk_fma_f16 v3, v11, v4, v3 op_sel:[1,0,0] neg_lo:[0,0,1] neg_hi:[0,0,1]
	v_pk_add_f16 v4, v6, v7 op_sel:[0,1] op_sel_hi:[1,0]
	v_pk_add_f16 v6, v6, v7 op_sel:[0,1] op_sel_hi:[1,0] neg_lo:[0,1] neg_hi:[0,1]
	s_delay_alu instid0(VALU_DEP_4) | instskip(NEXT) | instid1(VALU_DEP_4)
	v_pk_add_f16 v8, v8, v7 op_sel:[0,1] op_sel_hi:[1,0] neg_lo:[0,1] neg_hi:[0,1]
	v_pk_add_f16 v3, v3, v7 op_sel:[0,1] op_sel_hi:[1,0] neg_lo:[0,1] neg_hi:[0,1]
	s_delay_alu instid0(VALU_DEP_3) | instskip(NEXT) | instid1(VALU_DEP_2)
	v_bfi_b32 v4, 0xffff, v4, v6
	v_bfi_b32 v3, 0xffff, v8, v3
	ds_store_b32 v40, v4 offset:4400
	;; [unrolled: 27-line block ×3, first 2 shown]
	ds_store_b32 v2, v3 offset:7200
	ds_load_b32 v3, v40 offset:5200
	ds_load_b32 v4, v2 offset:6800
	s_wait_dscnt 0x0
	v_pk_add_f16 v6, v3, v4 neg_lo:[0,1] neg_hi:[0,1]
	v_pk_add_f16 v3, v3, v4
	s_delay_alu instid0(VALU_DEP_1) | instskip(SKIP_1) | instid1(VALU_DEP_2)
	v_bfi_b32 v4, 0xffff, v6, v3
	v_bfi_b32 v3, 0xffff, v3, v6
	v_pk_mul_f16 v4, v4, 0.5 op_sel_hi:[1,0]
	s_delay_alu instid0(VALU_DEP_2) | instskip(SKIP_1) | instid1(VALU_DEP_1)
	v_pk_mul_f16 v3, v3, 0.5 op_sel_hi:[1,0]
	s_wait_loadcnt 0x1
	v_pk_fma_f16 v6, v10, v4, v3 op_sel:[1,0,0]
	v_pk_mul_f16 v7, v10, v4 op_sel_hi:[0,1]
	v_pk_fma_f16 v8, v10, v4, v3 op_sel:[1,0,0] neg_lo:[1,0,0] neg_hi:[1,0,0]
	v_pk_fma_f16 v3, v10, v4, v3 op_sel:[1,0,0] neg_lo:[0,0,1] neg_hi:[0,0,1]
	s_delay_alu instid0(VALU_DEP_3) | instskip(SKIP_1) | instid1(VALU_DEP_4)
	v_pk_add_f16 v4, v6, v7 op_sel:[0,1] op_sel_hi:[1,0]
	v_pk_add_f16 v6, v6, v7 op_sel:[0,1] op_sel_hi:[1,0] neg_lo:[0,1] neg_hi:[0,1]
	v_pk_add_f16 v8, v8, v7 op_sel:[0,1] op_sel_hi:[1,0] neg_lo:[0,1] neg_hi:[0,1]
	s_delay_alu instid0(VALU_DEP_4) | instskip(NEXT) | instid1(VALU_DEP_3)
	v_pk_add_f16 v3, v3, v7 op_sel:[0,1] op_sel_hi:[1,0] neg_lo:[0,1] neg_hi:[0,1]
	v_bfi_b32 v4, 0xffff, v4, v6
	s_delay_alu instid0(VALU_DEP_2)
	v_bfi_b32 v3, 0xffff, v8, v3
	ds_store_b32 v40, v4 offset:5200
	ds_store_b32 v2, v3 offset:6800
	ds_load_b32 v3, v40 offset:5600
	ds_load_b32 v4, v2 offset:6400
	s_wait_dscnt 0x0
	v_pk_add_f16 v6, v3, v4 neg_lo:[0,1] neg_hi:[0,1]
	v_pk_add_f16 v3, v3, v4
	s_delay_alu instid0(VALU_DEP_1) | instskip(SKIP_1) | instid1(VALU_DEP_2)
	v_bfi_b32 v4, 0xffff, v6, v3
	v_bfi_b32 v3, 0xffff, v3, v6
	v_pk_mul_f16 v4, v4, 0.5 op_sel_hi:[1,0]
	s_delay_alu instid0(VALU_DEP_2) | instskip(SKIP_1) | instid1(VALU_DEP_2)
	v_pk_mul_f16 v3, v3, 0.5 op_sel_hi:[1,0]
	s_wait_loadcnt 0x0
	v_pk_mul_f16 v7, v5, v4 op_sel_hi:[0,1]
	s_delay_alu instid0(VALU_DEP_2) | instskip(SKIP_2) | instid1(VALU_DEP_3)
	v_pk_fma_f16 v6, v5, v4, v3 op_sel:[1,0,0]
	v_pk_fma_f16 v8, v5, v4, v3 op_sel:[1,0,0] neg_lo:[1,0,0] neg_hi:[1,0,0]
	v_pk_fma_f16 v3, v5, v4, v3 op_sel:[1,0,0] neg_lo:[0,0,1] neg_hi:[0,0,1]
	v_pk_add_f16 v4, v6, v7 op_sel:[0,1] op_sel_hi:[1,0]
	v_pk_add_f16 v5, v6, v7 op_sel:[0,1] op_sel_hi:[1,0] neg_lo:[0,1] neg_hi:[0,1]
	s_delay_alu instid0(VALU_DEP_4) | instskip(NEXT) | instid1(VALU_DEP_4)
	v_pk_add_f16 v6, v8, v7 op_sel:[0,1] op_sel_hi:[1,0] neg_lo:[0,1] neg_hi:[0,1]
	v_pk_add_f16 v3, v3, v7 op_sel:[0,1] op_sel_hi:[1,0] neg_lo:[0,1] neg_hi:[0,1]
	s_delay_alu instid0(VALU_DEP_3) | instskip(NEXT) | instid1(VALU_DEP_2)
	v_bfi_b32 v4, 0xffff, v4, v5
	v_bfi_b32 v3, 0xffff, v6, v3
	ds_store_b32 v40, v4 offset:5600
	ds_store_b32 v2, v3 offset:6400
	global_wb scope:SCOPE_SE
	s_wait_dscnt 0x0
	s_barrier_signal -1
	s_barrier_wait -1
	global_inv scope:SCOPE_SE
	s_and_saveexec_b32 s0, vcc_lo
	s_cbranch_execz .LBB0_20
; %bb.18:
	v_add_nc_u32_e32 v6, 0x200, v40
	v_add_nc_u32_e32 v8, 0x400, v40
	;; [unrolled: 1-line block ×3, first 2 shown]
	ds_load_2addr_b32 v[4:5], v40 offset1:100
	v_add_nc_u32_e32 v12, 0xc00, v40
	v_add_nc_u32_e32 v14, 0xe00, v40
	ds_load_2addr_b32 v[6:7], v6 offset0:72 offset1:172
	v_add_nc_u32_e32 v16, 0x1200, v40
	ds_load_2addr_b32 v[8:9], v8 offset0:144 offset1:244
	ds_load_2addr_b32 v[10:11], v10 offset0:88 offset1:188
	;; [unrolled: 1-line block ×5, first 2 shown]
	v_add_co_u32 v2, vcc_lo, s8, v26
	s_wait_alu 0xfffd
	v_add_co_ci_u32_e32 v3, vcc_lo, s9, v27, vcc_lo
	v_add_nc_u32_e32 v18, 0x1400, v40
	s_delay_alu instid0(VALU_DEP_3) | instskip(SKIP_1) | instid1(VALU_DEP_3)
	v_add_co_u32 v0, vcc_lo, v2, v0
	s_wait_alu 0xfffd
	v_add_co_ci_u32_e32 v1, vcc_lo, v3, v1, vcc_lo
	v_add_nc_u32_e32 v20, 0x1800, v40
	v_add_nc_u32_e32 v29, 0x2400, v40
	;; [unrolled: 1-line block ×7, first 2 shown]
	ds_load_2addr_b32 v[18:19], v18 offset0:120 offset1:220
	ds_load_2addr_b32 v[20:21], v20 offset0:64 offset1:164
	;; [unrolled: 1-line block ×5, first 2 shown]
	s_wait_dscnt 0xb
	s_clause 0x1
	global_store_b32 v[0:1], v4, off
	global_store_b32 v[0:1], v5, off offset:400
	s_wait_dscnt 0xa
	s_clause 0x1
	global_store_b32 v[0:1], v6, off offset:800
	global_store_b32 v[0:1], v7, off offset:1200
	s_wait_dscnt 0x9
	s_clause 0x1
	global_store_b32 v[0:1], v8, off offset:1600
	;; [unrolled: 4-line block ×3, first 2 shown]
	global_store_b32 v[0:1], v11, off offset:2800
	ds_load_2addr_b32 v[4:5], v29 offset0:96 offset1:196
	ds_load_2addr_b32 v[6:7], v30 offset0:40 offset1:140
	;; [unrolled: 1-line block ×3, first 2 shown]
	v_cmp_eq_u32_e32 vcc_lo, 0x63, v24
	s_wait_dscnt 0xa
	s_clause 0x1
	global_store_b32 v[0:1], v12, off offset:3200
	global_store_b32 v[0:1], v13, off offset:3600
	s_wait_dscnt 0x9
	s_clause 0x1
	global_store_b32 v[0:1], v14, off offset:4000
	global_store_b32 v[0:1], v15, off offset:4400
	;; [unrolled: 4-line block ×11, first 2 shown]
	s_and_b32 exec_lo, exec_lo, vcc_lo
	s_cbranch_execz .LBB0_20
; %bb.19:
	v_mov_b32_e32 v0, 0
	ds_load_b32 v0, v0 offset:12000
	s_wait_dscnt 0x0
	global_store_b32 v[2:3], v0, off offset:12000
.LBB0_20:
	s_nop 0
	s_sendmsg sendmsg(MSG_DEALLOC_VGPRS)
	s_endpgm
	.section	.rodata,"a",@progbits
	.p2align	6, 0x0
	.amdhsa_kernel fft_rtc_back_len3000_factors_10_3_10_10_wgs_100_tpt_100_halfLds_half_ip_CI_unitstride_sbrr_R2C_dirReg
		.amdhsa_group_segment_fixed_size 0
		.amdhsa_private_segment_fixed_size 0
		.amdhsa_kernarg_size 88
		.amdhsa_user_sgpr_count 2
		.amdhsa_user_sgpr_dispatch_ptr 0
		.amdhsa_user_sgpr_queue_ptr 0
		.amdhsa_user_sgpr_kernarg_segment_ptr 1
		.amdhsa_user_sgpr_dispatch_id 0
		.amdhsa_user_sgpr_private_segment_size 0
		.amdhsa_wavefront_size32 1
		.amdhsa_uses_dynamic_stack 0
		.amdhsa_enable_private_segment 0
		.amdhsa_system_sgpr_workgroup_id_x 1
		.amdhsa_system_sgpr_workgroup_id_y 0
		.amdhsa_system_sgpr_workgroup_id_z 0
		.amdhsa_system_sgpr_workgroup_info 0
		.amdhsa_system_vgpr_workitem_id 0
		.amdhsa_next_free_vgpr 128
		.amdhsa_next_free_sgpr 32
		.amdhsa_reserve_vcc 1
		.amdhsa_float_round_mode_32 0
		.amdhsa_float_round_mode_16_64 0
		.amdhsa_float_denorm_mode_32 3
		.amdhsa_float_denorm_mode_16_64 3
		.amdhsa_fp16_overflow 0
		.amdhsa_workgroup_processor_mode 1
		.amdhsa_memory_ordered 1
		.amdhsa_forward_progress 0
		.amdhsa_round_robin_scheduling 0
		.amdhsa_exception_fp_ieee_invalid_op 0
		.amdhsa_exception_fp_denorm_src 0
		.amdhsa_exception_fp_ieee_div_zero 0
		.amdhsa_exception_fp_ieee_overflow 0
		.amdhsa_exception_fp_ieee_underflow 0
		.amdhsa_exception_fp_ieee_inexact 0
		.amdhsa_exception_int_div_zero 0
	.end_amdhsa_kernel
	.text
.Lfunc_end0:
	.size	fft_rtc_back_len3000_factors_10_3_10_10_wgs_100_tpt_100_halfLds_half_ip_CI_unitstride_sbrr_R2C_dirReg, .Lfunc_end0-fft_rtc_back_len3000_factors_10_3_10_10_wgs_100_tpt_100_halfLds_half_ip_CI_unitstride_sbrr_R2C_dirReg
                                        ; -- End function
	.section	.AMDGPU.csdata,"",@progbits
; Kernel info:
; codeLenInByte = 21980
; NumSgprs: 34
; NumVgprs: 128
; ScratchSize: 0
; MemoryBound: 0
; FloatMode: 240
; IeeeMode: 1
; LDSByteSize: 0 bytes/workgroup (compile time only)
; SGPRBlocks: 4
; VGPRBlocks: 15
; NumSGPRsForWavesPerEU: 34
; NumVGPRsForWavesPerEU: 128
; Occupancy: 10
; WaveLimiterHint : 1
; COMPUTE_PGM_RSRC2:SCRATCH_EN: 0
; COMPUTE_PGM_RSRC2:USER_SGPR: 2
; COMPUTE_PGM_RSRC2:TRAP_HANDLER: 0
; COMPUTE_PGM_RSRC2:TGID_X_EN: 1
; COMPUTE_PGM_RSRC2:TGID_Y_EN: 0
; COMPUTE_PGM_RSRC2:TGID_Z_EN: 0
; COMPUTE_PGM_RSRC2:TIDIG_COMP_CNT: 0
	.text
	.p2alignl 7, 3214868480
	.fill 96, 4, 3214868480
	.type	__hip_cuid_af05a66626b49322,@object ; @__hip_cuid_af05a66626b49322
	.section	.bss,"aw",@nobits
	.globl	__hip_cuid_af05a66626b49322
__hip_cuid_af05a66626b49322:
	.byte	0                               ; 0x0
	.size	__hip_cuid_af05a66626b49322, 1

	.ident	"AMD clang version 19.0.0git (https://github.com/RadeonOpenCompute/llvm-project roc-6.4.0 25133 c7fe45cf4b819c5991fe208aaa96edf142730f1d)"
	.section	".note.GNU-stack","",@progbits
	.addrsig
	.addrsig_sym __hip_cuid_af05a66626b49322
	.amdgpu_metadata
---
amdhsa.kernels:
  - .args:
      - .actual_access:  read_only
        .address_space:  global
        .offset:         0
        .size:           8
        .value_kind:     global_buffer
      - .offset:         8
        .size:           8
        .value_kind:     by_value
      - .actual_access:  read_only
        .address_space:  global
        .offset:         16
        .size:           8
        .value_kind:     global_buffer
      - .actual_access:  read_only
        .address_space:  global
        .offset:         24
        .size:           8
        .value_kind:     global_buffer
      - .offset:         32
        .size:           8
        .value_kind:     by_value
      - .actual_access:  read_only
        .address_space:  global
        .offset:         40
        .size:           8
        .value_kind:     global_buffer
      - .actual_access:  read_only
        .address_space:  global
        .offset:         48
        .size:           8
        .value_kind:     global_buffer
      - .offset:         56
        .size:           4
        .value_kind:     by_value
      - .actual_access:  read_only
        .address_space:  global
        .offset:         64
        .size:           8
        .value_kind:     global_buffer
      - .actual_access:  read_only
        .address_space:  global
        .offset:         72
        .size:           8
        .value_kind:     global_buffer
      - .address_space:  global
        .offset:         80
        .size:           8
        .value_kind:     global_buffer
    .group_segment_fixed_size: 0
    .kernarg_segment_align: 8
    .kernarg_segment_size: 88
    .language:       OpenCL C
    .language_version:
      - 2
      - 0
    .max_flat_workgroup_size: 100
    .name:           fft_rtc_back_len3000_factors_10_3_10_10_wgs_100_tpt_100_halfLds_half_ip_CI_unitstride_sbrr_R2C_dirReg
    .private_segment_fixed_size: 0
    .sgpr_count:     34
    .sgpr_spill_count: 0
    .symbol:         fft_rtc_back_len3000_factors_10_3_10_10_wgs_100_tpt_100_halfLds_half_ip_CI_unitstride_sbrr_R2C_dirReg.kd
    .uniform_work_group_size: 1
    .uses_dynamic_stack: false
    .vgpr_count:     128
    .vgpr_spill_count: 0
    .wavefront_size: 32
    .workgroup_processor_mode: 1
amdhsa.target:   amdgcn-amd-amdhsa--gfx1201
amdhsa.version:
  - 1
  - 2
...

	.end_amdgpu_metadata
